;; amdgpu-corpus repo=ROCm/rocFFT kind=compiled arch=gfx1030 opt=O3
	.text
	.amdgcn_target "amdgcn-amd-amdhsa--gfx1030"
	.amdhsa_code_object_version 6
	.protected	fft_rtc_fwd_len3750_factors_3_5_5_10_5_wgs_125_tpt_125_halfLds_dp_ip_CI_sbrr_dirReg ; -- Begin function fft_rtc_fwd_len3750_factors_3_5_5_10_5_wgs_125_tpt_125_halfLds_dp_ip_CI_sbrr_dirReg
	.globl	fft_rtc_fwd_len3750_factors_3_5_5_10_5_wgs_125_tpt_125_halfLds_dp_ip_CI_sbrr_dirReg
	.p2align	8
	.type	fft_rtc_fwd_len3750_factors_3_5_5_10_5_wgs_125_tpt_125_halfLds_dp_ip_CI_sbrr_dirReg,@function
fft_rtc_fwd_len3750_factors_3_5_5_10_5_wgs_125_tpt_125_halfLds_dp_ip_CI_sbrr_dirReg: ; @fft_rtc_fwd_len3750_factors_3_5_5_10_5_wgs_125_tpt_125_halfLds_dp_ip_CI_sbrr_dirReg
; %bb.0:
	s_clause 0x2
	s_load_dwordx2 s[14:15], s[4:5], 0x18
	s_load_dwordx4 s[8:11], s[4:5], 0x0
	s_load_dwordx2 s[12:13], s[4:5], 0x50
	s_mov_b64 s[26:27], s[2:3]
	s_mov_b64 s[24:25], s[0:1]
	v_mul_u32_u24_e32 v1, 0x20d, v0
	v_mov_b32_e32 v3, 0
	s_add_u32 s24, s24, s7
	s_addc_u32 s25, s25, 0
	v_add_nc_u32_sdwa v5, s6, v1 dst_sel:DWORD dst_unused:UNUSED_PAD src0_sel:DWORD src1_sel:WORD_1
	v_mov_b32_e32 v1, 0
	v_mov_b32_e32 v6, v3
	;; [unrolled: 1-line block ×3, first 2 shown]
	s_waitcnt lgkmcnt(0)
	s_load_dwordx2 s[2:3], s[14:15], 0x0
	v_cmp_lt_u64_e64 s0, s[10:11], 2
	s_and_b32 vcc_lo, exec_lo, s0
	s_cbranch_vccnz .LBB0_8
; %bb.1:
	s_load_dwordx2 s[0:1], s[4:5], 0x10
	v_mov_b32_e32 v1, 0
	s_add_u32 s6, s14, 8
	v_mov_b32_e32 v2, 0
	s_addc_u32 s7, s15, 0
	s_mov_b64 s[18:19], 1
	s_waitcnt lgkmcnt(0)
	s_add_u32 s16, s0, 8
	s_addc_u32 s17, s1, 0
.LBB0_2:                                ; =>This Inner Loop Header: Depth=1
	s_load_dwordx2 s[20:21], s[16:17], 0x0
                                        ; implicit-def: $vgpr7_vgpr8
	s_mov_b32 s0, exec_lo
	s_waitcnt lgkmcnt(0)
	v_or_b32_e32 v4, s21, v6
	v_cmpx_ne_u64_e32 0, v[3:4]
	s_xor_b32 s1, exec_lo, s0
	s_cbranch_execz .LBB0_4
; %bb.3:                                ;   in Loop: Header=BB0_2 Depth=1
	v_cvt_f32_u32_e32 v4, s20
	v_cvt_f32_u32_e32 v7, s21
	s_sub_u32 s0, 0, s20
	s_subb_u32 s22, 0, s21
	v_fmac_f32_e32 v4, 0x4f800000, v7
	v_rcp_f32_e32 v4, v4
	v_mul_f32_e32 v4, 0x5f7ffffc, v4
	v_mul_f32_e32 v7, 0x2f800000, v4
	v_trunc_f32_e32 v7, v7
	v_fmac_f32_e32 v4, 0xcf800000, v7
	v_cvt_u32_f32_e32 v7, v7
	v_cvt_u32_f32_e32 v4, v4
	v_mul_lo_u32 v8, s0, v7
	v_mul_hi_u32 v9, s0, v4
	v_mul_lo_u32 v10, s22, v4
	v_add_nc_u32_e32 v8, v9, v8
	v_mul_lo_u32 v9, s0, v4
	v_add_nc_u32_e32 v8, v8, v10
	v_mul_hi_u32 v10, v4, v9
	v_mul_lo_u32 v11, v4, v8
	v_mul_hi_u32 v12, v4, v8
	v_mul_hi_u32 v13, v7, v9
	v_mul_lo_u32 v9, v7, v9
	v_mul_hi_u32 v14, v7, v8
	v_mul_lo_u32 v8, v7, v8
	v_add_co_u32 v10, vcc_lo, v10, v11
	v_add_co_ci_u32_e32 v11, vcc_lo, 0, v12, vcc_lo
	v_add_co_u32 v9, vcc_lo, v10, v9
	v_add_co_ci_u32_e32 v9, vcc_lo, v11, v13, vcc_lo
	v_add_co_ci_u32_e32 v10, vcc_lo, 0, v14, vcc_lo
	v_add_co_u32 v8, vcc_lo, v9, v8
	v_add_co_ci_u32_e32 v9, vcc_lo, 0, v10, vcc_lo
	v_add_co_u32 v4, vcc_lo, v4, v8
	v_add_co_ci_u32_e32 v7, vcc_lo, v7, v9, vcc_lo
	v_mul_hi_u32 v8, s0, v4
	v_mul_lo_u32 v10, s22, v4
	v_mul_lo_u32 v9, s0, v7
	v_add_nc_u32_e32 v8, v8, v9
	v_mul_lo_u32 v9, s0, v4
	v_add_nc_u32_e32 v8, v8, v10
	v_mul_hi_u32 v10, v4, v9
	v_mul_lo_u32 v11, v4, v8
	v_mul_hi_u32 v12, v4, v8
	v_mul_hi_u32 v13, v7, v9
	v_mul_lo_u32 v9, v7, v9
	v_mul_hi_u32 v14, v7, v8
	v_mul_lo_u32 v8, v7, v8
	v_add_co_u32 v10, vcc_lo, v10, v11
	v_add_co_ci_u32_e32 v11, vcc_lo, 0, v12, vcc_lo
	v_add_co_u32 v9, vcc_lo, v10, v9
	v_add_co_ci_u32_e32 v9, vcc_lo, v11, v13, vcc_lo
	v_add_co_ci_u32_e32 v10, vcc_lo, 0, v14, vcc_lo
	v_add_co_u32 v8, vcc_lo, v9, v8
	v_add_co_ci_u32_e32 v9, vcc_lo, 0, v10, vcc_lo
	v_add_co_u32 v4, vcc_lo, v4, v8
	v_add_co_ci_u32_e32 v11, vcc_lo, v7, v9, vcc_lo
	v_mul_hi_u32 v13, v5, v4
	v_mad_u64_u32 v[9:10], null, v6, v4, 0
	v_mad_u64_u32 v[7:8], null, v5, v11, 0
	v_mad_u64_u32 v[11:12], null, v6, v11, 0
	v_add_co_u32 v4, vcc_lo, v13, v7
	v_add_co_ci_u32_e32 v7, vcc_lo, 0, v8, vcc_lo
	v_add_co_u32 v4, vcc_lo, v4, v9
	v_add_co_ci_u32_e32 v4, vcc_lo, v7, v10, vcc_lo
	v_add_co_ci_u32_e32 v7, vcc_lo, 0, v12, vcc_lo
	v_add_co_u32 v4, vcc_lo, v4, v11
	v_add_co_ci_u32_e32 v9, vcc_lo, 0, v7, vcc_lo
	v_mul_lo_u32 v10, s21, v4
	v_mad_u64_u32 v[7:8], null, s20, v4, 0
	v_mul_lo_u32 v11, s20, v9
	v_sub_co_u32 v7, vcc_lo, v5, v7
	v_add3_u32 v8, v8, v11, v10
	v_sub_nc_u32_e32 v10, v6, v8
	v_subrev_co_ci_u32_e64 v10, s0, s21, v10, vcc_lo
	v_add_co_u32 v11, s0, v4, 2
	v_add_co_ci_u32_e64 v12, s0, 0, v9, s0
	v_sub_co_u32 v13, s0, v7, s20
	v_sub_co_ci_u32_e32 v8, vcc_lo, v6, v8, vcc_lo
	v_subrev_co_ci_u32_e64 v10, s0, 0, v10, s0
	v_cmp_le_u32_e32 vcc_lo, s20, v13
	v_cmp_eq_u32_e64 s0, s21, v8
	v_cndmask_b32_e64 v13, 0, -1, vcc_lo
	v_cmp_le_u32_e32 vcc_lo, s21, v10
	v_cndmask_b32_e64 v14, 0, -1, vcc_lo
	v_cmp_le_u32_e32 vcc_lo, s20, v7
	;; [unrolled: 2-line block ×3, first 2 shown]
	v_cndmask_b32_e64 v15, 0, -1, vcc_lo
	v_cmp_eq_u32_e32 vcc_lo, s21, v10
	v_cndmask_b32_e64 v7, v15, v7, s0
	v_cndmask_b32_e32 v10, v14, v13, vcc_lo
	v_add_co_u32 v13, vcc_lo, v4, 1
	v_add_co_ci_u32_e32 v14, vcc_lo, 0, v9, vcc_lo
	v_cmp_ne_u32_e32 vcc_lo, 0, v10
	v_cndmask_b32_e32 v8, v14, v12, vcc_lo
	v_cndmask_b32_e32 v10, v13, v11, vcc_lo
	v_cmp_ne_u32_e32 vcc_lo, 0, v7
	v_cndmask_b32_e32 v8, v9, v8, vcc_lo
	v_cndmask_b32_e32 v7, v4, v10, vcc_lo
.LBB0_4:                                ;   in Loop: Header=BB0_2 Depth=1
	s_andn2_saveexec_b32 s0, s1
	s_cbranch_execz .LBB0_6
; %bb.5:                                ;   in Loop: Header=BB0_2 Depth=1
	v_cvt_f32_u32_e32 v4, s20
	s_sub_i32 s1, 0, s20
	v_rcp_iflag_f32_e32 v4, v4
	v_mul_f32_e32 v4, 0x4f7ffffe, v4
	v_cvt_u32_f32_e32 v4, v4
	v_mul_lo_u32 v7, s1, v4
	v_mul_hi_u32 v7, v4, v7
	v_add_nc_u32_e32 v4, v4, v7
	v_mul_hi_u32 v4, v5, v4
	v_mul_lo_u32 v7, v4, s20
	v_add_nc_u32_e32 v8, 1, v4
	v_sub_nc_u32_e32 v7, v5, v7
	v_subrev_nc_u32_e32 v9, s20, v7
	v_cmp_le_u32_e32 vcc_lo, s20, v7
	v_cndmask_b32_e32 v7, v7, v9, vcc_lo
	v_cndmask_b32_e32 v4, v4, v8, vcc_lo
	v_cmp_le_u32_e32 vcc_lo, s20, v7
	v_add_nc_u32_e32 v8, 1, v4
	v_cndmask_b32_e32 v7, v4, v8, vcc_lo
	v_mov_b32_e32 v8, v3
.LBB0_6:                                ;   in Loop: Header=BB0_2 Depth=1
	s_or_b32 exec_lo, exec_lo, s0
	s_load_dwordx2 s[0:1], s[6:7], 0x0
	v_mul_lo_u32 v4, v8, s20
	v_mul_lo_u32 v11, v7, s21
	v_mad_u64_u32 v[9:10], null, v7, s20, 0
	s_add_u32 s18, s18, 1
	s_addc_u32 s19, s19, 0
	s_add_u32 s6, s6, 8
	s_addc_u32 s7, s7, 0
	;; [unrolled: 2-line block ×3, first 2 shown]
	v_add3_u32 v4, v10, v11, v4
	v_sub_co_u32 v5, vcc_lo, v5, v9
	v_sub_co_ci_u32_e32 v4, vcc_lo, v6, v4, vcc_lo
	s_waitcnt lgkmcnt(0)
	v_mul_lo_u32 v6, s1, v5
	v_mul_lo_u32 v4, s0, v4
	v_mad_u64_u32 v[1:2], null, s0, v5, v[1:2]
	v_cmp_ge_u64_e64 s0, s[18:19], s[10:11]
	s_and_b32 vcc_lo, exec_lo, s0
	v_add3_u32 v2, v6, v2, v4
	s_cbranch_vccnz .LBB0_9
; %bb.7:                                ;   in Loop: Header=BB0_2 Depth=1
	v_mov_b32_e32 v5, v7
	v_mov_b32_e32 v6, v8
	s_branch .LBB0_2
.LBB0_8:
	v_mov_b32_e32 v8, v6
	v_mov_b32_e32 v7, v5
.LBB0_9:
	s_lshl_b64 s[0:1], s[10:11], 3
	v_mul_hi_u32 v3, 0x20c49bb, v0
	s_add_u32 s0, s14, s0
	s_addc_u32 s1, s15, s1
	s_load_dwordx2 s[4:5], s[4:5], 0x20
	s_load_dwordx2 s[0:1], s[0:1], 0x0
                                        ; implicit-def: $vgpr184
                                        ; implicit-def: $vgpr185
                                        ; implicit-def: $vgpr186
                                        ; implicit-def: $vgpr194
                                        ; implicit-def: $vgpr212
                                        ; implicit-def: $vgpr122
                                        ; implicit-def: $vgpr220
	v_mul_u32_u24_e32 v3, 0x7d, v3
	v_sub_nc_u32_e32 v176, v0, v3
	v_add_nc_u32_e32 v180, 0x7d, v176
	v_add_nc_u32_e32 v174, 0xfa, v176
	;; [unrolled: 1-line block ×5, first 2 shown]
	s_waitcnt lgkmcnt(0)
	v_cmp_gt_u64_e32 vcc_lo, s[4:5], v[7:8]
	v_mul_lo_u32 v3, s0, v8
	v_mul_lo_u32 v4, s1, v7
	v_mad_u64_u32 v[0:1], null, s0, v7, v[1:2]
	v_cmp_le_u64_e64 s0, s[4:5], v[7:8]
	v_add_nc_u32_e32 v182, 0x2ee, v176
	v_add_nc_u32_e32 v250, 0x465, v176
	v_add3_u32 v1, v4, v1, v3
	s_and_saveexec_b32 s1, s0
	s_xor_b32 s0, exec_lo, s1
; %bb.10:
	v_add_nc_u32_e32 v184, 0x7d, v176
	v_add_nc_u32_e32 v185, 0xfa, v176
	;; [unrolled: 1-line block ×7, first 2 shown]
; %bb.11:
	s_or_saveexec_b32 s1, s0
	v_lshlrev_b64 v[120:121], 4, v[0:1]
	v_add_nc_u32_e32 v172, 0x9c4, v176
	v_add_nc_u32_e32 v167, 0xa41, v176
	;; [unrolled: 1-line block ×12, first 2 shown]
                                        ; implicit-def: $vgpr6_vgpr7
                                        ; implicit-def: $vgpr2_vgpr3
                                        ; implicit-def: $vgpr10_vgpr11
                                        ; implicit-def: $vgpr18_vgpr19
                                        ; implicit-def: $vgpr14_vgpr15
                                        ; implicit-def: $vgpr22_vgpr23
                                        ; implicit-def: $vgpr30_vgpr31
                                        ; implicit-def: $vgpr26_vgpr27
                                        ; implicit-def: $vgpr34_vgpr35
                                        ; implicit-def: $vgpr42_vgpr43
                                        ; implicit-def: $vgpr38_vgpr39
                                        ; implicit-def: $vgpr46_vgpr47
                                        ; implicit-def: $vgpr54_vgpr55
                                        ; implicit-def: $vgpr50_vgpr51
                                        ; implicit-def: $vgpr58_vgpr59
                                        ; implicit-def: $vgpr66_vgpr67
                                        ; implicit-def: $vgpr62_vgpr63
                                        ; implicit-def: $vgpr70_vgpr71
                                        ; implicit-def: $vgpr78_vgpr79
                                        ; implicit-def: $vgpr74_vgpr75
                                        ; implicit-def: $vgpr82_vgpr83
                                        ; implicit-def: $vgpr94_vgpr95
                                        ; implicit-def: $vgpr90_vgpr91
                                        ; implicit-def: $vgpr98_vgpr99
                                        ; implicit-def: $vgpr106_vgpr107
                                        ; implicit-def: $vgpr118_vgpr119
                                        ; implicit-def: $vgpr102_vgpr103
                                        ; implicit-def: $vgpr110_vgpr111
                                        ; implicit-def: $vgpr114_vgpr115
                                        ; implicit-def: $vgpr86_vgpr87
	s_xor_b32 exec_lo, exec_lo, s1
	s_cbranch_execz .LBB0_13
; %bb.12:
	v_add_nc_u32_e32 v10, 0x4e2, v176
	v_mad_u64_u32 v[0:1], null, s2, v176, 0
	v_mad_u64_u32 v[6:7], null, s2, v172, 0
	;; [unrolled: 1-line block ×4, first 2 shown]
	v_add_co_u32 v18, s0, s12, v120
	v_add_co_ci_u32_e64 v19, s0, s13, v121, s0
	v_mad_u64_u32 v[4:5], null, s3, v176, v[1:2]
	v_mov_b32_e32 v1, v3
	v_mov_b32_e32 v3, v7
	v_add_nc_u32_e32 v15, 0x55f, v176
	v_mad_u64_u32 v[13:14], null, s2, v167, 0
	v_mad_u64_u32 v[10:11], null, s3, v10, v[1:2]
	v_mov_b32_e32 v1, v4
	v_mad_u64_u32 v[11:12], null, s3, v172, v[3:4]
	v_mov_b32_e32 v4, v9
	v_mad_u64_u32 v[20:21], null, s2, v249, 0
	v_lshlrev_b64 v[0:1], 4, v[0:1]
	v_mov_b32_e32 v3, v10
	v_add_nc_u32_e32 v27, 0xabe, v176
	v_mov_b32_e32 v7, v11
	v_mad_u64_u32 v[11:12], null, s2, v15, 0
	v_lshlrev_b64 v[9:10], 4, v[2:3]
	v_add_co_u32 v2, s0, v18, v0
	v_add_co_ci_u32_e64 v3, s0, v19, v1, s0
	v_mad_u64_u32 v[0:1], null, s3, v180, v[4:5]
	v_lshlrev_b64 v[6:7], 4, v[6:7]
	v_add_co_u32 v4, s0, v18, v9
	v_mov_b32_e32 v1, v12
	v_add_co_ci_u32_e64 v5, s0, v19, v10, s0
	v_mov_b32_e32 v9, v0
	v_add_co_u32 v0, s0, v18, v6
	v_mad_u64_u32 v[15:16], null, s3, v15, v[1:2]
	v_add_co_ci_u32_e64 v1, s0, v19, v7, s0
	v_lshlrev_b64 v[7:8], 4, v[8:9]
	v_mov_b32_e32 v6, v14
	v_mad_u64_u32 v[16:17], null, s2, v174, 0
	v_mov_b32_e32 v12, v15
	v_mad_u64_u32 v[25:26], null, s2, v169, 0
	v_mad_u64_u32 v[9:10], null, s3, v167, v[6:7]
	v_add_co_u32 v6, s0, v18, v7
	v_add_co_ci_u32_e64 v7, s0, v19, v8, s0
	v_mov_b32_e32 v8, v17
	v_lshlrev_b64 v[10:11], 4, v[11:12]
	v_mov_b32_e32 v14, v9
	v_mov_b32_e32 v12, v21
	v_add_nc_u32_e32 v29, 0xb3b, v176
	v_mad_u64_u32 v[22:23], null, s3, v174, v[8:9]
	v_mad_u64_u32 v[23:24], null, s2, v27, 0
	v_add_co_u32 v8, s0, v18, v10
	v_add_co_ci_u32_e64 v9, s0, v19, v11, s0
	v_mov_b32_e32 v17, v22
	v_lshlrev_b64 v[10:11], 4, v[13:14]
	v_mad_u64_u32 v[12:13], null, s3, v249, v[12:13]
	v_mov_b32_e32 v13, v24
	v_lshlrev_b64 v[14:15], 4, v[16:17]
	v_mad_u64_u32 v[32:33], null, s2, v183, 0
	v_add_co_u32 v10, s0, v18, v10
	v_mov_b32_e32 v21, v12
	v_mad_u64_u32 v[16:17], null, s3, v27, v[13:14]
	v_add_co_ci_u32_e64 v11, s0, v19, v11, s0
	v_add_co_u32 v12, s0, v18, v14
	v_add_co_ci_u32_e64 v13, s0, v19, v15, s0
	v_lshlrev_b64 v[14:15], 4, v[20:21]
	v_mad_u64_u32 v[20:21], null, s2, v179, 0
	v_mov_b32_e32 v17, v26
	v_mov_b32_e32 v24, v16
	v_mad_u64_u32 v[39:40], null, s2, v178, 0
	v_add_co_u32 v14, s0, v18, v14
	v_mad_u64_u32 v[16:17], null, s3, v169, v[17:18]
	v_mov_b32_e32 v17, v21
	v_lshlrev_b64 v[21:22], 4, v[23:24]
	v_mad_u64_u32 v[23:24], null, s2, v29, 0
	v_add_co_ci_u32_e64 v15, s0, v19, v15, s0
	v_mad_u64_u32 v[27:28], null, s3, v179, v[17:18]
	v_mov_b32_e32 v26, v16
	v_add_co_u32 v16, s0, v18, v21
	v_add_co_ci_u32_e64 v17, s0, v19, v22, s0
	v_mov_b32_e32 v22, v24
	v_mov_b32_e32 v21, v27
	v_mad_u64_u32 v[27:28], null, s2, v165, 0
	v_lshlrev_b64 v[25:26], 4, v[25:26]
	v_mad_u64_u32 v[29:30], null, s3, v29, v[22:23]
	v_mad_u64_u32 v[30:31], null, s2, v175, 0
	v_lshlrev_b64 v[20:21], 4, v[20:21]
	v_mov_b32_e32 v22, v28
	v_add_co_u32 v25, s0, v18, v25
	v_mov_b32_e32 v24, v29
	v_add_co_ci_u32_e64 v26, s0, v19, v26, s0
	v_mad_u64_u32 v[28:29], null, s3, v165, v[22:23]
	v_lshlrev_b64 v[23:24], 4, v[23:24]
	v_mov_b32_e32 v22, v31
	v_add_co_u32 v20, s0, v18, v20
	v_add_co_ci_u32_e64 v21, s0, v19, v21, s0
	v_mad_u64_u32 v[34:35], null, s3, v175, v[22:23]
	v_add_co_u32 v22, s0, v18, v23
	v_add_co_ci_u32_e64 v23, s0, v19, v24, s0
	v_mov_b32_e32 v24, v33
	v_lshlrev_b64 v[27:28], 4, v[27:28]
	v_mov_b32_e32 v31, v34
	v_mad_u64_u32 v[34:35], null, s2, v164, 0
	v_mad_u64_u32 v[36:37], null, s3, v183, v[24:25]
	;; [unrolled: 1-line block ×3, first 2 shown]
	v_lshlrev_b64 v[29:30], 4, v[30:31]
	v_add_co_u32 v27, s0, v18, v27
	v_mov_b32_e32 v24, v35
	v_mov_b32_e32 v33, v36
	v_add_co_ci_u32_e64 v28, s0, v19, v28, s0
	v_add_co_u32 v29, s0, v18, v29
	v_mad_u64_u32 v[35:36], null, s3, v164, v[24:25]
	v_mov_b32_e32 v24, v38
	v_lshlrev_b64 v[31:32], 4, v[32:33]
	v_add_nc_u32_e32 v46, 0x7d0, v176
	v_add_co_ci_u32_e64 v30, s0, v19, v30, s0
	v_mad_u64_u32 v[41:42], null, s3, v171, v[24:25]
	v_lshlrev_b64 v[33:34], 4, v[34:35]
	v_mad_u64_u32 v[35:36], null, s2, v182, 0
	v_mov_b32_e32 v24, v40
	v_add_co_u32 v31, s0, v18, v31
	v_mov_b32_e32 v38, v41
	v_add_co_ci_u32_e64 v32, s0, v19, v32, s0
	v_mad_u64_u32 v[40:41], null, s3, v178, v[24:25]
	v_mov_b32_e32 v24, v36
	v_lshlrev_b64 v[36:37], 4, v[37:38]
	v_add_co_u32 v33, s0, v18, v33
	v_mad_u64_u32 v[41:42], null, s2, v46, 0
	v_add_co_ci_u32_e64 v34, s0, v19, v34, s0
	v_mad_u64_u32 v[43:44], null, s3, v182, v[24:25]
	v_add_co_u32 v44, s0, v18, v36
	v_add_co_ci_u32_e64 v45, s0, v19, v37, s0
	v_lshlrev_b64 v[37:38], 4, v[39:40]
	v_mad_u64_u32 v[39:40], null, s2, v173, 0
	v_mov_b32_e32 v24, v42
	v_mov_b32_e32 v36, v43
	v_add_nc_u32_e32 v55, 0xdac, v176
	v_add_co_u32 v37, s0, v18, v37
	v_mad_u64_u32 v[42:43], null, s3, v46, v[24:25]
	v_mov_b32_e32 v24, v40
	v_mad_u64_u32 v[46:47], null, s2, v181, 0
	v_add_nc_u32_e32 v43, 0x84d, v176
	v_lshlrev_b64 v[35:36], 4, v[35:36]
	v_mad_u64_u32 v[48:49], null, s3, v173, v[24:25]
	v_lshlrev_b64 v[41:42], 4, v[41:42]
	v_mad_u64_u32 v[49:50], null, s2, v43, 0
	v_mov_b32_e32 v24, v47
	v_add_co_ci_u32_e64 v38, s0, v19, v38, s0
	v_mov_b32_e32 v40, v48
	v_add_co_u32 v35, s0, v18, v35
	v_mad_u64_u32 v[47:48], null, s3, v181, v[24:25]
	v_mov_b32_e32 v24, v50
	v_lshlrev_b64 v[39:40], 4, v[39:40]
	v_add_co_ci_u32_e64 v36, s0, v19, v36, s0
	v_add_co_u32 v41, s0, v18, v41
	v_mad_u64_u32 v[50:51], null, s3, v43, v[24:25]
	v_mad_u64_u32 v[51:52], null, s2, v170, 0
	v_add_co_ci_u32_e64 v42, s0, v19, v42, s0
	v_add_co_u32 v122, s0, v18, v39
	v_add_co_ci_u32_e64 v123, s0, v19, v40, s0
	v_lshlrev_b64 v[39:40], 4, v[46:47]
	v_mov_b32_e32 v24, v52
	v_mad_u64_u32 v[46:47], null, s2, v177, 0
	v_add_nc_u32_e32 v43, 0x8ca, v176
	v_add_nc_u32_e32 v56, 0xe29, v176
	v_mad_u64_u32 v[52:53], null, s3, v170, v[24:25]
	v_add_co_u32 v124, s0, v18, v39
	v_mad_u64_u32 v[53:54], null, s2, v43, 0
	v_add_co_ci_u32_e64 v125, s0, v19, v40, s0
	v_mov_b32_e32 v24, v47
	v_lshlrev_b64 v[39:40], 4, v[49:50]
	s_clause 0x1
	global_load_dwordx4 v[84:87], v[2:3], off
	global_load_dwordx4 v[112:115], v[4:5], off
	v_mov_b32_e32 v220, v250
	v_mov_b32_e32 v212, v164
	v_mad_u64_u32 v[47:48], null, s3, v177, v[24:25]
	v_mov_b32_e32 v24, v54
	v_mad_u64_u32 v[48:49], null, s2, v55, 0
	v_add_co_u32 v126, s0, v18, v39
	v_add_co_ci_u32_e64 v127, s0, v19, v40, s0
	v_lshlrev_b64 v[39:40], 4, v[51:52]
	v_mad_u64_u32 v[50:51], null, s3, v43, v[24:25]
	v_mov_b32_e32 v24, v49
	v_add_nc_u32_e32 v43, 0x947, v176
	v_mov_b32_e32 v194, v165
	v_add_co_u32 v128, s0, v18, v39
	v_add_co_ci_u32_e64 v129, s0, v19, v40, s0
	v_lshlrev_b64 v[39:40], 4, v[46:47]
	v_mov_b32_e32 v54, v50
	v_mad_u64_u32 v[46:47], null, s3, v55, v[24:25]
	v_mad_u64_u32 v[50:51], null, s2, v250, 0
	v_add_co_u32 v130, s0, v18, v39
	v_add_co_ci_u32_e64 v131, s0, v19, v40, s0
	v_mad_u64_u32 v[39:40], null, s2, v43, 0
	v_mov_b32_e32 v24, v51
	v_mov_b32_e32 v49, v46
	v_mad_u64_u32 v[46:47], null, s2, v56, 0
	v_lshlrev_b64 v[52:53], 4, v[53:54]
	v_mad_u64_u32 v[54:55], null, s3, v250, v[24:25]
	v_mov_b32_e32 v24, v40
	v_mov_b32_e32 v186, v169
	;; [unrolled: 1-line block ×3, first 2 shown]
	v_add_co_u32 v132, s0, v18, v52
	v_mov_b32_e32 v40, v47
	v_add_co_ci_u32_e64 v133, s0, v19, v53, s0
	v_mad_u64_u32 v[52:53], null, s3, v43, v[24:25]
	v_mov_b32_e32 v51, v54
	v_mad_u64_u32 v[53:54], null, s3, v56, v[40:41]
	v_lshlrev_b64 v[47:48], 4, v[48:49]
	v_mov_b32_e32 v184, v180
	v_lshlrev_b64 v[2:3], 4, v[50:51]
	v_mov_b32_e32 v40, v52
	v_add_co_u32 v4, s0, v18, v47
	v_mov_b32_e32 v47, v53
	v_lshlrev_b64 v[39:40], 4, v[39:40]
	v_add_co_ci_u32_e64 v5, s0, v19, v48, s0
	v_add_co_u32 v2, s0, v18, v2
	v_lshlrev_b64 v[46:47], 4, v[46:47]
	v_add_co_ci_u32_e64 v3, s0, v19, v3, s0
	v_add_co_u32 v134, s0, v18, v39
	v_add_co_ci_u32_e64 v135, s0, v19, v40, s0
	v_add_co_u32 v136, s0, v18, v46
	v_add_co_ci_u32_e64 v137, s0, v19, v47, s0
	s_clause 0x1b
	global_load_dwordx4 v[108:111], v[0:1], off
	global_load_dwordx4 v[100:103], v[6:7], off
	;; [unrolled: 1-line block ×28, first 2 shown]
	v_mov_b32_e32 v122, v182
.LBB0_13:
	s_or_b32 exec_lo, exec_lo, s1
	s_waitcnt vmcnt(27)
	v_add_f64 v[123:124], v[108:109], v[112:113]
	s_waitcnt vmcnt(24)
	v_add_f64 v[125:126], v[104:105], v[116:117]
	;; [unrolled: 2-line block ×3, first 2 shown]
	v_add_f64 v[129:130], v[112:113], v[84:85]
	s_waitcnt vmcnt(18)
	v_add_f64 v[135:136], v[76:77], v[72:73]
	v_add_f64 v[137:138], v[116:117], v[100:101]
	;; [unrolled: 1-line block ×4, first 2 shown]
	s_mov_b32 s0, 0xe8584caa
	v_add_f64 v[131:132], v[114:115], v[86:87]
	s_mov_b32 s1, 0x3febb67a
	s_mov_b32 s5, 0xbfebb67a
	v_add_f64 v[141:142], v[118:119], -v[106:107]
	v_add_f64 v[118:119], v[106:107], v[118:119]
	s_waitcnt vmcnt(15)
	v_add_f64 v[153:154], v[64:65], v[60:61]
	s_mov_b32 s4, s0
	v_add_f64 v[133:134], v[114:115], -v[110:111]
	v_add_f64 v[114:115], v[110:111], v[114:115]
	v_add_f64 v[145:146], v[74:75], -v[78:79]
	v_add_f64 v[112:113], v[112:113], -v[108:109]
	v_add_f64 v[147:148], v[74:75], v[82:83]
	v_add_f64 v[149:150], v[78:79], v[74:75]
	v_fma_f64 v[84:85], v[123:124], -0.5, v[84:85]
	v_fma_f64 v[100:101], v[125:126], -0.5, v[100:101]
	v_add_f64 v[123:124], v[90:91], -v[94:95]
	v_add_f64 v[125:126], v[90:91], v[98:99]
	v_add_f64 v[90:91], v[94:95], v[90:91]
	v_fma_f64 v[96:97], v[127:128], -0.5, v[96:97]
	v_add_f64 v[127:128], v[72:73], v[80:81]
	v_fma_f64 v[135:136], v[135:136], -0.5, v[80:81]
	v_add_f64 v[108:109], v[108:109], v[129:130]
	v_add_f64 v[151:152], v[60:61], v[68:69]
	;; [unrolled: 1-line block ×4, first 2 shown]
	v_add_f64 v[88:89], v[88:89], -v[92:93]
	s_waitcnt vmcnt(13)
	v_add_f64 v[92:93], v[48:49], v[56:57]
	v_add_f64 v[110:111], v[110:111], v[131:132]
	v_fma_f64 v[102:103], v[118:119], -0.5, v[102:103]
	v_add_f64 v[131:132], v[50:51], v[58:59]
	s_waitcnt vmcnt(9)
	v_add_f64 v[139:140], v[40:41], v[36:37]
	v_add_f64 v[72:73], v[72:73], -v[76:77]
	v_fma_f64 v[68:69], v[153:154], -0.5, v[68:69]
	v_fma_f64 v[86:87], v[114:115], -0.5, v[86:87]
	v_add_f64 v[116:117], v[116:117], -v[104:105]
	v_fma_f64 v[114:115], v[133:134], s[0:1], v[84:85]
	v_fma_f64 v[118:119], v[141:142], s[0:1], v[100:101]
	;; [unrolled: 1-line block ×3, first 2 shown]
	v_add_f64 v[80:81], v[94:95], v[125:126]
	v_fma_f64 v[90:91], v[90:91], -0.5, v[98:99]
	v_add_f64 v[98:99], v[52:53], v[48:49]
	v_fma_f64 v[129:130], v[123:124], s[0:1], v[96:97]
	v_fma_f64 v[96:97], v[123:124], s[4:5], v[96:97]
	v_add_f64 v[123:124], v[66:67], v[62:63]
	v_add_f64 v[94:95], v[62:63], v[70:71]
	;; [unrolled: 1-line block ×4, first 2 shown]
	s_waitcnt vmcnt(6)
	v_add_f64 v[76:77], v[28:29], v[24:25]
	v_add_f64 v[62:63], v[62:63], -v[66:67]
	v_fma_f64 v[84:85], v[133:134], s[4:5], v[84:85]
	v_fma_f64 v[127:128], v[145:146], s[0:1], v[135:136]
	;; [unrolled: 1-line block ×3, first 2 shown]
	v_add_f64 v[135:136], v[54:55], v[50:51]
	v_add_f64 v[50:51], v[50:51], -v[54:55]
	v_add_f64 v[104:105], v[104:105], v[137:138]
	v_add_f64 v[137:138], v[36:37], v[44:45]
	;; [unrolled: 1-line block ×4, first 2 shown]
	v_add_f64 v[60:61], v[60:61], -v[64:65]
	v_add_f64 v[64:65], v[52:53], v[92:93]
	s_waitcnt vmcnt(0)
	v_add_f64 v[92:93], v[4:5], v[0:1]
	v_add_f64 v[54:55], v[54:55], v[131:132]
	v_fma_f64 v[56:57], v[98:99], -0.5, v[56:57]
	v_fma_f64 v[44:45], v[139:140], -0.5, v[44:45]
	v_add_f64 v[38:39], v[38:39], -v[42:43]
	v_fma_f64 v[123:124], v[123:124], -0.5, v[70:71]
	v_add_f64 v[70:71], v[16:17], v[12:13]
	v_add_f64 v[66:67], v[66:67], v[94:95]
	;; [unrolled: 1-line block ×5, first 2 shown]
	v_fma_f64 v[32:33], v[76:77], -0.5, v[32:33]
	v_add_f64 v[76:77], v[26:27], -v[30:31]
	v_fma_f64 v[131:132], v[62:63], s[0:1], v[68:69]
	v_fma_f64 v[62:63], v[62:63], s[4:5], v[68:69]
	v_fma_f64 v[58:59], v[135:136], -0.5, v[58:59]
	v_add_f64 v[52:53], v[48:49], -v[52:53]
	v_add_f64 v[48:49], v[40:41], v[137:138]
	v_fma_f64 v[136:137], v[145:146], -0.5, v[46:47]
	v_add_f64 v[26:27], v[26:27], v[34:35]
	v_add_f64 v[46:47], v[12:13], v[20:21]
	v_add_f64 v[138:139], v[36:37], -v[40:41]
	v_add_f64 v[36:37], v[14:15], v[22:23]
	v_add_f64 v[40:41], v[0:1], v[8:9]
	v_fma_f64 v[68:69], v[50:51], s[0:1], v[56:57]
	v_fma_f64 v[50:51], v[50:51], s[4:5], v[56:57]
	v_fma_f64 v[8:9], v[92:93], -0.5, v[8:9]
	v_add_f64 v[92:93], v[2:3], -v[6:7]
	v_fma_f64 v[20:21], v[70:71], -0.5, v[20:21]
	v_add_f64 v[70:71], v[14:15], -v[18:19]
	v_add_f64 v[14:15], v[18:19], v[14:15]
	v_mad_u32_u24 v142, v176, 24, 0
	v_mad_i32_i24 v187, v184, 24, 0
	v_mad_i32_i24 v188, v185, 24, 0
	;; [unrolled: 1-line block ×4, first 2 shown]
	v_fma_f64 v[94:95], v[94:95], -0.5, v[34:35]
	v_add_f64 v[34:35], v[2:3], v[10:11]
	v_add_f64 v[2:3], v[6:7], v[2:3]
	v_mad_i32_i24 v192, v212, 24, 0
	v_fma_f64 v[82:83], v[149:150], -0.5, v[82:83]
	v_fma_f64 v[56:57], v[38:39], s[0:1], v[44:45]
	v_fma_f64 v[38:39], v[38:39], s[4:5], v[44:45]
	v_add_f64 v[42:43], v[28:29], v[42:43]
	v_fma_f64 v[44:45], v[76:77], s[0:1], v[32:33]
	ds_write2_b64 v142, v[108:109], v[114:115] offset1:1
	ds_write_b64 v142, v[84:85] offset:16
	ds_write2_b64 v187, v[104:105], v[118:119] offset1:1
	ds_write_b64 v187, v[100:101] offset:16
	;; [unrolled: 2-line block ×6, first 2 shown]
	v_fma_f64 v[62:63], v[112:113], s[4:5], v[86:87]
	v_fma_f64 v[32:33], v[76:77], s[4:5], v[32:33]
	v_add_f64 v[76:77], v[30:31], v[26:27]
	v_add_f64 v[140:141], v[24:25], -v[28:29]
	v_add_f64 v[24:25], v[16:17], v[46:47]
	v_fma_f64 v[26:27], v[70:71], s[0:1], v[20:21]
	v_fma_f64 v[20:21], v[70:71], s[4:5], v[20:21]
	v_add_f64 v[78:79], v[78:79], v[147:148]
	v_fma_f64 v[147:148], v[14:15], -0.5, v[22:23]
	v_add_f64 v[149:150], v[12:13], -v[16:17]
	v_add_f64 v[12:13], v[4:5], v[40:41]
	v_fma_f64 v[14:15], v[92:93], s[0:1], v[8:9]
	v_fma_f64 v[8:9], v[92:93], s[4:5], v[8:9]
	v_lshl_add_u32 v193, v176, 3, 0
	v_lshlrev_b32_e32 v204, 4, v185
	v_lshlrev_b32_e32 v205, 4, v186
	;; [unrolled: 1-line block ×5, first 2 shown]
	v_fma_f64 v[64:65], v[112:113], s[0:1], v[86:87]
	v_mad_i32_i24 v191, v122, 24, 0
	v_lshlrev_b32_e32 v197, 4, v122
	v_add_nc_u32_e32 v114, 0x5208, v142
	v_add_nc_u32_e32 v202, 0x2800, v193
	;; [unrolled: 1-line block ×3, first 2 shown]
	v_sub_nc_u32_e32 v215, v188, v204
	v_add_nc_u32_e32 v206, 0x2000, v193
	v_fma_f64 v[151:152], v[2:3], -0.5, v[10:11]
	v_add_f64 v[153:154], v[0:1], -v[4:5]
	v_add_nc_u32_e32 v201, 0x4000, v193
	v_add_nc_u32_e32 v195, 0x4800, v193
	v_sub_nc_u32_e32 v216, v189, v205
	v_add_nc_u32_e32 v207, 0x3800, v193
	v_add_nc_u32_e32 v115, 0x5dc0, v142
	;; [unrolled: 1-line block ×5, first 2 shown]
	v_sub_nc_u32_e32 v217, v190, v209
	v_sub_nc_u32_e32 v214, v187, v200
	;; [unrolled: 1-line block ×3, first 2 shown]
	v_mad_i32_i24 v118, v220, 24, 0
	v_sub_nc_u32_e32 v213, v191, v197
	v_add_nc_u32_e32 v198, 0x1800, v193
	v_fma_f64 v[68:69], v[116:117], s[4:5], v[102:103]
	v_fma_f64 v[86:87], v[88:89], s[4:5], v[90:91]
	;; [unrolled: 1-line block ×7, first 2 shown]
	v_add_f64 v[145:146], v[18:19], v[36:37]
	v_add_f64 v[92:93], v[6:7], v[34:35]
	ds_write2_b64 v191, v[48:49], v[56:57] offset1:1
	ds_write_b64 v191, v[38:39] offset:16
	ds_write2_b64 v114, v[42:43], v[44:45] offset1:1
	ds_write_b64 v142, v[32:33] offset:21016
	;; [unrolled: 2-line block ×4, first 2 shown]
	s_waitcnt lgkmcnt(0)
	s_barrier
	buffer_gl0_inv
	ds_read_b64 v[70:71], v193
	ds_read2_b64 v[8:11], v202 offset0:95 offset1:220
	ds_read2_b64 v[4:7], v201 offset0:77 offset1:202
	;; [unrolled: 1-line block ×3, first 2 shown]
	ds_read_b64 v[50:51], v214
	ds_read2_b64 v[36:39], v198 offset0:107 offset1:232
	ds_read2_b64 v[40:43], v203 offset0:89 offset1:214
	;; [unrolled: 1-line block ×7, first 2 shown]
	v_add_nc_u32_e32 v211, 0x6800, v193
	ds_read_b64 v[56:57], v215
	ds_read_b64 v[48:49], v216
	;; [unrolled: 1-line block ×5, first 2 shown]
	ds_read_b64 v[134:135], v193 offset:29000
	ds_read2_b64 v[12:15], v211 offset0:47 offset1:172
	s_waitcnt lgkmcnt(0)
	s_barrier
	v_fma_f64 v[84:85], v[116:117], s[0:1], v[102:103]
	buffer_gl0_inv
	ds_write2_b64 v142, v[110:111], v[62:63] offset1:1
	v_fma_f64 v[62:63], v[52:53], s[4:5], v[58:59]
	v_fma_f64 v[52:53], v[52:53], s[0:1], v[58:59]
	;; [unrolled: 1-line block ×4, first 2 shown]
	v_and_b32_e32 v221, 0xff, v184
	v_fma_f64 v[100:101], v[140:141], s[4:5], v[94:95]
	ds_write_b64 v142, v[64:65] offset:16
	v_mov_b32_e32 v116, 0xaaab
	v_fma_f64 v[94:95], v[140:141], s[0:1], v[94:95]
	v_mul_lo_u16 v64, 0xab, v221
	v_fma_f64 v[108:109], v[153:154], s[0:1], v[151:152]
	v_fma_f64 v[102:103], v[149:150], s[4:5], v[147:148]
	;; [unrolled: 1-line block ×4, first 2 shown]
	v_lshrrev_b16 v222, 9, v64
	ds_write2_b64 v187, v[74:75], v[68:69] offset1:1
	ds_write_b64 v187, v[84:85] offset:16
	ds_write2_b64 v188, v[80:81], v[86:87] offset1:1
	ds_write_b64 v188, v[88:89] offset:16
	;; [unrolled: 2-line block ×5, first 2 shown]
	v_mul_u32_u24_sdwa v60, v185, v116 dst_sel:DWORD dst_unused:UNUSED_PAD src0_sel:WORD_0 src1_sel:DWORD
	v_mul_lo_u16 v52, v222, 3
	v_mov_b32_e32 v162, 6
	ds_write2_b64 v191, v[98:99], v[58:59] offset1:1
	ds_write_b64 v191, v[96:97] offset:16
	ds_write2_b64 v114, v[76:77], v[100:101] offset1:1
	ds_write_b64 v142, v[94:95] offset:21016
	;; [unrolled: 2-line block ×3, first 2 shown]
	ds_write2_b64 v118, v[92:93], v[106:107] offset1:1
	v_lshrrev_b32_e32 v225, 17, v60
	v_sub_nc_u16 v227, v184, v52
	ds_write_b64 v118, v[108:109] offset:16
	s_waitcnt lgkmcnt(0)
	s_barrier
	v_mul_lo_u16 v59, v225, 3
	v_lshlrev_b32_sdwa v58, v162, v227 dst_sel:DWORD dst_unused:UNUSED_PAD src0_sel:DWORD src1_sel:BYTE_0
	buffer_gl0_inv
	v_and_b32_e32 v163, 0xff, v176
	s_mov_b32 s10, 0x134454ff
	v_sub_nc_u16 v226, v185, v59
	global_load_dwordx4 v[52:55], v58, s[8:9]
	s_mov_b32 s11, 0x3fee6f0e
	s_mov_b32 s6, 0x4755a5e
	s_mov_b32 s7, 0x3fe2cf23
	v_lshlrev_b32_sdwa v59, v162, v226 dst_sel:DWORD dst_unused:UNUSED_PAD src0_sel:DWORD src1_sel:WORD_0
	s_clause 0x6
	global_load_dwordx4 v[60:63], v59, s[8:9]
	global_load_dwordx4 v[72:75], v58, s[8:9] offset:16
	global_load_dwordx4 v[80:83], v59, s[8:9] offset:16
	;; [unrolled: 1-line block ×6, first 2 shown]
	v_mul_u32_u24_sdwa v58, v186, v116 dst_sel:DWORD dst_unused:UNUSED_PAD src0_sel:WORD_0 src1_sel:DWORD
	v_mul_u32_u24_sdwa v59, v194, v116 dst_sel:DWORD dst_unused:UNUSED_PAD src0_sel:WORD_0 src1_sel:DWORD
	s_mov_b32 s4, 0x372fe950
	s_mov_b32 s5, 0x3fd3c6ef
	v_mov_b32_e32 v219, 3
	v_lshrrev_b32_e32 v223, 17, v58
	v_lshrrev_b32_e32 v136, 17, v59
	s_mov_b32 s17, 0xbfee6f0e
	s_mov_b32 s16, s10
	;; [unrolled: 1-line block ×3, first 2 shown]
	v_mul_lo_u16 v58, v223, 3
	v_mul_lo_u16 v59, v136, 3
	s_mov_b32 s14, s6
	v_lshl_add_u32 v220, v220, 3, 0
	v_cmp_gt_u32_e64 s0, 0x4b, v176
	v_sub_nc_u16 v224, v186, v58
	v_sub_nc_u16 v137, v194, v59
	v_lshlrev_b32_sdwa v76, v162, v224 dst_sel:DWORD dst_unused:UNUSED_PAD src0_sel:DWORD src1_sel:WORD_0
	v_lshlrev_b32_sdwa v77, v162, v137 dst_sel:DWORD dst_unused:UNUSED_PAD src0_sel:DWORD src1_sel:WORD_0
	s_clause 0x5
	global_load_dwordx4 v[102:105], v76, s[8:9]
	global_load_dwordx4 v[110:113], v77, s[8:9]
	global_load_dwordx4 v[138:141], v76, s[8:9] offset:16
	global_load_dwordx4 v[142:145], v77, s[8:9] offset:16
	;; [unrolled: 1-line block ×4, first 2 shown]
	ds_read2_b64 v[66:69], v198 offset0:107 offset1:232
	global_load_dwordx4 v[150:153], v77, s[8:9] offset:32
	ds_read2_b64 v[106:109], v203 offset0:89 offset1:214
	s_waitcnt vmcnt(14) lgkmcnt(1)
	v_mul_f64 v[58:59], v[66:67], v[54:55]
	v_mul_f64 v[54:55], v[36:37], v[54:55]
	s_waitcnt vmcnt(13)
	v_mul_f64 v[64:65], v[68:69], v[62:63]
	v_fma_f64 v[78:79], v[36:37], v[52:53], -v[58:59]
	v_mul_f64 v[36:37], v[38:39], v[62:63]
	v_fma_f64 v[66:67], v[66:67], v[52:53], v[54:55]
	v_fma_f64 v[58:59], v[38:39], v[60:61], -v[64:65]
	s_waitcnt vmcnt(12) lgkmcnt(0)
	v_mul_f64 v[38:39], v[106:107], v[74:75]
	v_mul_f64 v[52:53], v[40:41], v[74:75]
	s_waitcnt vmcnt(11)
	v_mul_f64 v[74:75], v[42:43], v[82:83]
	v_fma_f64 v[54:55], v[68:69], v[60:61], v[36:37]
	v_mul_f64 v[36:37], v[108:109], v[82:83]
	ds_read2_b64 v[60:63], v195 offset0:71 offset1:196
	v_fma_f64 v[84:85], v[40:41], v[72:73], -v[38:39]
	global_load_dwordx4 v[38:41], v77, s[8:9] offset:48
	v_fma_f64 v[76:77], v[108:109], v[80:81], v[74:75]
	v_fma_f64 v[68:69], v[106:107], v[72:73], v[52:53]
	ds_read2_b64 v[72:75], v196 offset0:53 offset1:178
	s_waitcnt vmcnt(11)
	v_mul_f64 v[52:53], v[32:33], v[88:89]
	s_waitcnt vmcnt(10)
	v_mul_f64 v[82:83], v[34:35], v[92:93]
	v_fma_f64 v[64:65], v[42:43], v[80:81], -v[36:37]
	s_waitcnt lgkmcnt(1)
	v_mul_f64 v[42:43], v[60:61], v[88:89]
	v_mul_f64 v[80:81], v[62:63], v[92:93]
	v_mul_lo_u16 v36, 0xab, v163
	v_fma_f64 v[106:107], v[60:61], v[86:87], v[52:53]
	v_lshrrev_b16 v36, 9, v36
	v_fma_f64 v[88:89], v[62:63], v[90:91], v[82:83]
	v_fma_f64 v[126:127], v[32:33], v[86:87], -v[42:43]
	v_mul_lo_u16 v32, v36, 3
	v_fma_f64 v[108:109], v[34:35], v[90:91], -v[80:81]
	s_waitcnt vmcnt(9) lgkmcnt(0)
	v_mul_f64 v[34:35], v[72:73], v[96:97]
	v_mul_f64 v[42:43], v[24:25], v[96:97]
	v_sub_nc_u16 v37, v176, v32
	v_mul_u32_u24_sdwa v32, v212, v116 dst_sel:DWORD dst_unused:UNUSED_PAD src0_sel:WORD_0 src1_sel:DWORD
	v_lshlrev_b32_sdwa v118, v162, v37 dst_sel:DWORD dst_unused:UNUSED_PAD src0_sel:DWORD src1_sel:BYTE_0
	v_lshrrev_b32_e32 v32, 17, v32
	global_load_dwordx4 v[158:161], v118, s[8:9] offset:16
	v_mul_lo_u16 v33, v32, 3
	v_sub_nc_u16 v33, v212, v33
	v_fma_f64 v[128:129], v[24:25], v[94:95], -v[34:35]
	s_waitcnt vmcnt(9)
	v_mul_f64 v[24:25], v[74:75], v[100:101]
	v_fma_f64 v[122:123], v[72:73], v[94:95], v[42:43]
	s_waitcnt vmcnt(8)
	v_mul_f64 v[42:43], v[28:29], v[104:105]
	v_lshlrev_b32_sdwa v96, v162, v33 dst_sel:DWORD dst_unused:UNUSED_PAD src0_sel:DWORD src1_sel:WORD_0
	global_load_dwordx4 v[228:231], v96, s[8:9]
	v_fma_f64 v[116:117], v[26:27], v[98:99], -v[24:25]
	v_mul_f64 v[24:25], v[26:27], v[100:101]
	v_fma_f64 v[52:53], v[74:75], v[98:99], v[24:25]
	ds_read2_b64 v[24:27], v206 offset0:101 offset1:226
	s_waitcnt lgkmcnt(0)
	v_mul_f64 v[34:35], v[24:25], v[104:105]
	s_waitcnt vmcnt(8)
	v_mul_f64 v[60:61], v[26:27], v[112:113]
	v_fma_f64 v[82:83], v[24:25], v[102:103], v[42:43]
	v_mul_f64 v[24:25], v[30:31], v[112:113]
	v_fma_f64 v[90:91], v[28:29], v[102:103], -v[34:35]
	v_fma_f64 v[74:75], v[30:31], v[110:111], -v[60:61]
	ds_read2_b64 v[28:31], v207 offset0:83 offset1:208
	v_fma_f64 v[72:73], v[26:27], v[110:111], v[24:25]
	s_waitcnt vmcnt(7)
	v_mul_f64 v[24:25], v[20:21], v[140:141]
	s_waitcnt vmcnt(6)
	v_mul_f64 v[60:61], v[22:23], v[144:145]
	s_waitcnt lgkmcnt(0)
	v_mul_f64 v[34:35], v[28:29], v[140:141]
	v_mul_f64 v[42:43], v[30:31], v[144:145]
	v_fma_f64 v[86:87], v[28:29], v[138:139], v[24:25]
	ds_read2_b64 v[24:27], v208 offset0:65 offset1:190
	v_fma_f64 v[92:93], v[30:31], v[142:143], v[60:61]
	global_load_dwordx4 v[28:31], v96, s[8:9] offset:16
	v_fma_f64 v[98:99], v[20:21], v[138:139], -v[34:35]
	v_fma_f64 v[80:81], v[22:23], v[142:143], -v[42:43]
	global_load_dwordx4 v[20:23], v118, s[8:9] offset:32
	s_waitcnt vmcnt(7)
	v_mul_f64 v[42:43], v[16:17], v[148:149]
	s_waitcnt lgkmcnt(0)
	v_mul_f64 v[34:35], v[24:25], v[148:149]
	s_waitcnt vmcnt(5)
	v_mul_f64 v[60:61], v[26:27], v[152:153]
	v_fma_f64 v[104:105], v[24:25], v[146:147], v[42:43]
	v_mul_f64 v[24:25], v[18:19], v[152:153]
	v_fma_f64 v[114:115], v[16:17], v[146:147], -v[34:35]
	v_fma_f64 v[102:103], v[18:19], v[150:151], -v[60:61]
	ds_read2_b64 v[16:19], v211 offset0:47 offset1:172
	v_mul_f64 v[42:43], v[12:13], v[156:157]
	v_fma_f64 v[94:95], v[26:27], v[150:151], v[24:25]
	s_clause 0x1
	global_load_dwordx4 v[24:27], v118, s[8:9]
	global_load_dwordx4 v[144:147], v118, s[8:9] offset:48
	s_waitcnt lgkmcnt(0)
	v_mul_f64 v[34:35], v[16:17], v[156:157]
	v_fma_f64 v[60:61], v[16:17], v[154:155], v[42:43]
	v_fma_f64 v[124:125], v[12:13], v[154:155], -v[34:35]
	s_waitcnt vmcnt(6)
	v_mul_f64 v[16:17], v[14:15], v[40:41]
	v_mul_f64 v[12:13], v[18:19], v[40:41]
	v_fma_f64 v[62:63], v[18:19], v[38:39], v[16:17]
	global_load_dwordx4 v[16:19], v96, s[8:9] offset:32
	v_fma_f64 v[112:113], v[14:15], v[38:39], -v[12:13]
	ds_read2_b64 v[12:15], v202 offset0:95 offset1:220
	s_waitcnt vmcnt(6)
	v_mul_f64 v[38:39], v[10:11], v[160:161]
	s_waitcnt lgkmcnt(0)
	v_mul_f64 v[34:35], v[14:15], v[160:161]
	v_fma_f64 v[142:143], v[14:15], v[158:159], v[38:39]
	global_load_dwordx4 v[38:41], v96, s[8:9] offset:48
	v_fma_f64 v[10:11], v[10:11], v[158:159], -v[34:35]
	s_waitcnt vmcnt(6)
	v_mul_f64 v[14:15], v[12:13], v[230:231]
	v_mul_f64 v[34:35], v[8:9], v[230:231]
	ds_read_b64 v[158:159], v214
	v_fma_f64 v[110:111], v[8:9], v[228:229], -v[14:15]
	v_fma_f64 v[96:97], v[12:13], v[228:229], v[34:35]
	ds_read2_b64 v[12:15], v201 offset0:77 offset1:202
	s_waitcnt vmcnt(4) lgkmcnt(0)
	v_mul_f64 v[8:9], v[14:15], v[22:23]
	v_mul_f64 v[22:23], v[6:7], v[22:23]
	v_fma_f64 v[6:7], v[6:7], v[20:21], -v[8:9]
	v_mul_f64 v[8:9], v[12:13], v[30:31]
	v_fma_f64 v[130:131], v[14:15], v[20:21], v[22:23]
	v_mul_f64 v[14:15], v[4:5], v[30:31]
	v_add_f64 v[231:232], v[10:11], -v[6:7]
	v_fma_f64 v[118:119], v[4:5], v[28:29], -v[8:9]
	ds_read_b64 v[8:9], v213
	s_waitcnt vmcnt(2)
	v_mul_f64 v[20:21], v[2:3], v[146:147]
	v_mul_f64 v[22:23], v[132:133], v[26:27]
	v_fma_f64 v[100:101], v[12:13], v[28:29], v[14:15]
	ds_read2_b64 v[12:15], v199 offset0:59 offset1:184
	v_add_f64 v[28:29], v[72:73], -v[62:63]
	s_waitcnt lgkmcnt(1)
	v_mul_f64 v[4:5], v[8:9], v[26:27]
	s_waitcnt lgkmcnt(0)
	v_mul_f64 v[26:27], v[14:15], v[146:147]
	v_fma_f64 v[138:139], v[8:9], v[24:25], v[22:23]
	v_add_f64 v[8:9], v[10:11], v[6:7]
	v_fma_f64 v[4:5], v[132:133], v[24:25], -v[4:5]
	v_fma_f64 v[132:133], v[14:15], v[144:145], v[20:21]
	v_lshlrev_b32_sdwa v25, v219, v37 dst_sel:DWORD dst_unused:UNUSED_PAD src0_sel:DWORD src1_sel:BYTE_0
	v_fma_f64 v[2:3], v[2:3], v[144:145], -v[26:27]
	v_mov_b32_e32 v26, 0x78
	v_fma_f64 v[8:9], v[8:9], -0.5, v[70:71]
	v_mul_u32_u24_sdwa v24, v36, v26 dst_sel:DWORD dst_unused:UNUSED_PAD src0_sel:WORD_0 src1_sel:DWORD
	v_add3_u32 v228, 0, v24, v25
	v_add_f64 v[20:21], v[70:71], v[4:5]
	v_add_f64 v[22:23], v[138:139], -v[132:133]
	v_add_f64 v[229:230], v[4:5], -v[2:3]
	s_waitcnt vmcnt(1)
	v_mul_f64 v[14:15], v[12:13], v[18:19]
	v_mul_f64 v[18:19], v[0:1], v[18:19]
	v_fma_f64 v[148:149], v[0:1], v[16:17], -v[14:15]
	v_fma_f64 v[144:145], v[12:13], v[16:17], v[18:19]
	v_add_f64 v[0:1], v[4:5], -v[10:11]
	v_add_f64 v[12:13], v[2:3], -v[6:7]
	v_add_f64 v[14:15], v[142:143], -v[130:131]
	v_add_f64 v[16:17], v[20:21], v[10:11]
	v_fma_f64 v[18:19], v[22:23], s[10:11], v[8:9]
	ds_read_b64 v[20:21], v193 offset:29000
	ds_read_b64 v[160:161], v193
	ds_read_b64 v[156:157], v215
	;; [unrolled: 1-line block ×5, first 2 shown]
	s_waitcnt vmcnt(0) lgkmcnt(0)
	s_barrier
	buffer_gl0_inv
	v_fma_f64 v[8:9], v[22:23], s[16:17], v[8:9]
	v_add_f64 v[0:1], v[0:1], v[12:13]
	v_add_f64 v[12:13], v[16:17], v[6:7]
	v_fma_f64 v[16:17], v[14:15], s[6:7], v[18:19]
	v_fma_f64 v[8:9], v[14:15], s[14:15], v[8:9]
	v_mul_f64 v[18:19], v[20:21], v[40:41]
	v_mul_f64 v[24:25], v[134:135], v[40:41]
	v_add_f64 v[12:13], v[12:13], v[2:3]
	v_fma_f64 v[16:17], v[0:1], s[4:5], v[16:17]
	v_fma_f64 v[0:1], v[0:1], s[4:5], v[8:9]
	v_add_f64 v[8:9], v[66:67], -v[122:123]
	v_fma_f64 v[150:151], v[134:135], v[38:39], -v[18:19]
	v_add_f64 v[18:19], v[6:7], -v[2:3]
	v_fma_f64 v[140:141], v[20:21], v[38:39], v[24:25]
	v_add_f64 v[20:21], v[126:127], -v[128:129]
	v_add_f64 v[24:25], v[54:55], -v[52:53]
	;; [unrolled: 1-line block ×3, first 2 shown]
	ds_write2_b64 v228, v[12:13], v[16:17] offset1:3
	v_add_f64 v[12:13], v[4:5], v[2:3]
	v_add_f64 v[16:17], v[10:11], -v[4:5]
	v_add_f64 v[4:5], v[138:139], -v[142:143]
	v_add_f64 v[10:11], v[160:161], v[138:139]
	ds_write_b64 v228, v[0:1] offset:96
	v_fma_f64 v[12:13], v[12:13], -0.5, v[70:71]
	v_add_f64 v[16:17], v[16:17], v[18:19]
	v_add_f64 v[235:236], v[4:5], v[6:7]
	;; [unrolled: 1-line block ×3, first 2 shown]
	v_fma_f64 v[18:19], v[14:15], s[16:17], v[12:13]
	v_fma_f64 v[12:13], v[14:15], s[10:11], v[12:13]
	v_add_f64 v[14:15], v[84:85], v[126:127]
	v_add_f64 v[4:5], v[4:5], v[130:131]
	v_fma_f64 v[18:19], v[22:23], s[6:7], v[18:19]
	v_fma_f64 v[12:13], v[22:23], s[14:15], v[12:13]
	v_fma_f64 v[14:15], v[14:15], -0.5, v[50:51]
	v_add_f64 v[237:238], v[4:5], v[132:133]
	v_fma_f64 v[18:19], v[16:17], s[4:5], v[18:19]
	v_fma_f64 v[12:13], v[16:17], s[4:5], v[12:13]
	v_mul_u32_u24_sdwa v16, v222, v26 dst_sel:DWORD dst_unused:UNUSED_PAD src0_sel:WORD_0 src1_sel:DWORD
	v_lshlrev_b32_sdwa v17, v219, v227 dst_sel:DWORD dst_unused:UNUSED_PAD src0_sel:DWORD src1_sel:BYTE_0
	v_fma_f64 v[0:1], v[8:9], s[10:11], v[14:15]
	v_add3_u32 v222, 0, v16, v17
	v_add_f64 v[16:17], v[78:79], -v[84:85]
	ds_write2_b64 v228, v[18:19], v[12:13] offset0:6 offset1:9
	v_add_f64 v[12:13], v[128:129], -v[126:127]
	v_add_f64 v[18:19], v[50:51], v[78:79]
	v_add_f64 v[12:13], v[16:17], v[12:13]
	v_add_f64 v[16:17], v[68:69], -v[106:107]
	v_add_f64 v[18:19], v[18:19], v[84:85]
	v_fma_f64 v[0:1], v[16:17], s[6:7], v[0:1]
	v_add_f64 v[18:19], v[18:19], v[126:127]
	v_fma_f64 v[0:1], v[12:13], s[4:5], v[0:1]
	v_add_f64 v[18:19], v[18:19], v[128:129]
	ds_write2_b64 v222, v[18:19], v[0:1] offset1:3
	v_add_f64 v[0:1], v[78:79], v[128:129]
	v_add_f64 v[18:19], v[84:85], -v[78:79]
	v_add_f64 v[78:79], v[78:79], -v[128:129]
	;; [unrolled: 1-line block ×5, first 2 shown]
	v_fma_f64 v[0:1], v[0:1], -0.5, v[50:51]
	v_add_f64 v[18:19], v[18:19], v[20:21]
	v_add_f64 v[126:127], v[126:127], v[128:129]
	;; [unrolled: 1-line block ×3, first 2 shown]
	v_fma_f64 v[20:21], v[16:17], s[16:17], v[0:1]
	v_fma_f64 v[0:1], v[16:17], s[10:11], v[0:1]
	v_fma_f64 v[128:129], v[128:129], -0.5, v[158:159]
	v_fma_f64 v[20:21], v[8:9], s[6:7], v[20:21]
	v_fma_f64 v[0:1], v[8:9], s[14:15], v[0:1]
	;; [unrolled: 1-line block ×3, first 2 shown]
	v_add_f64 v[14:15], v[108:109], -v[116:117]
	v_fma_f64 v[20:21], v[18:19], s[4:5], v[20:21]
	v_fma_f64 v[0:1], v[18:19], s[4:5], v[0:1]
	v_add_f64 v[18:19], v[58:59], -v[64:65]
	v_fma_f64 v[8:9], v[16:17], s[14:15], v[8:9]
	v_add_f64 v[16:17], v[76:77], -v[88:89]
	ds_write2_b64 v222, v[20:21], v[0:1] offset0:6 offset1:9
	v_add_f64 v[0:1], v[116:117], -v[108:109]
	v_add_f64 v[20:21], v[64:65], -v[58:59]
	v_fma_f64 v[8:9], v[12:13], s[4:5], v[8:9]
	v_add_f64 v[12:13], v[56:57], v[58:59]
	v_add_f64 v[0:1], v[18:19], v[0:1]
	;; [unrolled: 1-line block ×6, first 2 shown]
	ds_write_b64 v222, v[8:9] offset:96
	v_add_f64 v[8:9], v[48:49], v[90:91]
	v_add_f64 v[64:65], v[64:65], -v[108:109]
	v_add_f64 v[58:59], v[58:59], -v[116:117]
	v_fma_f64 v[18:19], v[18:19], -0.5, v[56:57]
	v_fma_f64 v[20:21], v[20:21], -0.5, v[56:57]
	v_add_f64 v[12:13], v[12:13], v[108:109]
	v_add_f64 v[108:109], v[52:53], -v[88:89]
	v_add_f64 v[8:9], v[8:9], v[98:99]
	v_fma_f64 v[22:23], v[16:17], s[16:17], v[18:19]
	v_fma_f64 v[18:19], v[16:17], s[10:11], v[18:19]
	;; [unrolled: 1-line block ×4, first 2 shown]
	v_add_f64 v[12:13], v[12:13], v[116:117]
	v_add_f64 v[8:9], v[8:9], v[114:115]
	;; [unrolled: 1-line block ×3, first 2 shown]
	v_fma_f64 v[22:23], v[24:25], s[6:7], v[22:23]
	v_fma_f64 v[18:19], v[24:25], s[14:15], v[18:19]
	;; [unrolled: 1-line block ×4, first 2 shown]
	v_add_f64 v[8:9], v[8:9], v[124:125]
	v_fma_f64 v[116:117], v[116:117], -0.5, v[156:157]
	v_fma_f64 v[22:23], v[14:15], s[4:5], v[22:23]
	v_fma_f64 v[14:15], v[14:15], s[4:5], v[18:19]
	;; [unrolled: 1-line block ×3, first 2 shown]
	v_add_f64 v[18:19], v[98:99], v[114:115]
	v_mul_u32_u24_e32 v24, 0x78, v225
	v_lshlrev_b32_sdwa v25, v219, v226 dst_sel:DWORD dst_unused:UNUSED_PAD src0_sel:DWORD src1_sel:WORD_0
	v_fma_f64 v[0:1], v[0:1], s[4:5], v[16:17]
	v_add_f64 v[16:17], v[90:91], -v[98:99]
	v_add3_u32 v225, 0, v24, v25
	v_add_f64 v[24:25], v[86:87], -v[104:105]
	ds_write2_b64 v225, v[22:23], v[14:15] offset0:6 offset1:9
	ds_write2_b64 v225, v[12:13], v[20:21] offset1:3
	v_add_f64 v[12:13], v[82:83], -v[60:61]
	v_fma_f64 v[18:19], v[18:19], -0.5, v[48:49]
	v_add_f64 v[20:21], v[90:91], v[124:125]
	v_add_f64 v[14:15], v[124:125], -v[114:115]
	ds_write_b64 v225, v[0:1] offset:96
	v_add_f64 v[0:1], v[98:99], -v[90:91]
	v_fma_f64 v[22:23], v[12:13], s[10:11], v[18:19]
	v_fma_f64 v[20:21], v[20:21], -0.5, v[48:49]
	v_add_f64 v[14:15], v[16:17], v[14:15]
	v_fma_f64 v[16:17], v[24:25], s[6:7], v[22:23]
	v_mul_u32_u24_e32 v22, 0x78, v223
	v_lshlrev_b32_sdwa v23, v219, v224 dst_sel:DWORD dst_unused:UNUSED_PAD src0_sel:DWORD src1_sel:WORD_0
	v_fma_f64 v[26:27], v[24:25], s[16:17], v[20:21]
	v_fma_f64 v[20:21], v[24:25], s[10:11], v[20:21]
	v_add3_u32 v223, 0, v22, v23
	v_add_f64 v[22:23], v[114:115], -v[124:125]
	v_fma_f64 v[16:17], v[14:15], s[4:5], v[16:17]
	v_fma_f64 v[20:21], v[12:13], s[14:15], v[20:21]
	v_add_f64 v[0:1], v[0:1], v[22:23]
	v_fma_f64 v[22:23], v[12:13], s[6:7], v[26:27]
	v_fma_f64 v[12:13], v[12:13], s[16:17], v[18:19]
	v_add_f64 v[18:19], v[74:75], -v[80:81]
	v_add_f64 v[26:27], v[112:113], -v[102:103]
	ds_write2_b64 v223, v[8:9], v[16:17] offset1:3
	v_add_f64 v[8:9], v[74:75], v[112:113]
	v_fma_f64 v[16:17], v[0:1], s[4:5], v[22:23]
	v_fma_f64 v[0:1], v[0:1], s[4:5], v[20:21]
	v_add_f64 v[20:21], v[80:81], v[102:103]
	v_fma_f64 v[12:13], v[24:25], s[14:15], v[12:13]
	v_add_f64 v[18:19], v[18:19], v[26:27]
	v_add_f64 v[22:23], v[92:93], -v[94:95]
	v_add_f64 v[24:25], v[80:81], -v[74:75]
	;; [unrolled: 1-line block ×3, first 2 shown]
	v_fma_f64 v[8:9], v[8:9], -0.5, v[46:47]
	ds_write2_b64 v223, v[16:17], v[0:1] offset0:6 offset1:9
	v_fma_f64 v[20:21], v[20:21], -0.5, v[46:47]
	v_fma_f64 v[0:1], v[14:15], s[4:5], v[12:13]
	v_add_f64 v[16:17], v[110:111], -v[118:119]
	v_add_f64 v[24:25], v[24:25], v[26:27]
	v_fma_f64 v[26:27], v[22:23], s[16:17], v[8:9]
	v_fma_f64 v[8:9], v[22:23], s[10:11], v[8:9]
	;; [unrolled: 1-line block ×8, first 2 shown]
	v_add_f64 v[22:23], v[150:151], -v[148:149]
	v_add_f64 v[30:31], v[96:97], -v[140:141]
	v_fma_f64 v[14:15], v[24:25], s[4:5], v[26:27]
	v_fma_f64 v[8:9], v[24:25], s[4:5], v[8:9]
	v_add_f64 v[24:25], v[118:119], -v[110:111]
	v_add_f64 v[26:27], v[148:149], -v[150:151]
	v_fma_f64 v[12:13], v[18:19], s[4:5], v[28:29]
	v_fma_f64 v[18:19], v[18:19], s[4:5], v[20:21]
	v_add_f64 v[20:21], v[110:111], v[150:151]
	v_add_f64 v[16:17], v[16:17], v[22:23]
	;; [unrolled: 1-line block ×4, first 2 shown]
	v_add_f64 v[26:27], v[100:101], -v[144:145]
	v_fma_f64 v[20:21], v[20:21], -0.5, v[44:45]
	v_fma_f64 v[22:23], v[22:23], -0.5, v[44:45]
	v_fma_f64 v[28:29], v[26:27], s[16:17], v[20:21]
	v_fma_f64 v[20:21], v[26:27], s[10:11], v[20:21]
	;; [unrolled: 1-line block ×8, first 2 shown]
	v_mul_u32_u24_e32 v26, 0x78, v136
	v_lshlrev_b32_sdwa v27, v219, v137 dst_sel:DWORD dst_unused:UNUSED_PAD src0_sel:DWORD src1_sel:WORD_0
	v_add3_u32 v227, 0, v26, v27
	v_mul_u32_u24_e32 v26, 0x78, v32
	v_lshlrev_b32_sdwa v27, v219, v33 dst_sel:DWORD dst_unused:UNUSED_PAD src0_sel:DWORD src1_sel:WORD_0
	v_add_f64 v[32:33], v[44:45], v[110:111]
	v_add3_u32 v226, 0, v26, v27
	v_add_f64 v[26:27], v[46:47], v[74:75]
	v_add_f64 v[74:75], v[74:75], -v[112:113]
	v_fma_f64 v[28:29], v[24:25], s[4:5], v[28:29]
	v_fma_f64 v[20:21], v[24:25], s[4:5], v[20:21]
	v_add_f64 v[24:25], v[142:143], v[130:131]
	v_add_f64 v[142:143], v[142:143], -v[138:139]
	v_add_f64 v[138:139], v[138:139], v[132:133]
	v_add_f64 v[130:131], v[130:131], -v[132:133]
	v_fma_f64 v[30:31], v[16:17], s[4:5], v[30:31]
	v_fma_f64 v[2:3], v[16:17], s[4:5], v[22:23]
	v_add_f64 v[32:33], v[32:33], v[118:119]
	v_add_f64 v[26:27], v[26:27], v[80:81]
	v_add_f64 v[80:81], v[80:81], -v[102:103]
	v_fma_f64 v[233:234], v[24:25], -0.5, v[160:161]
	v_fma_f64 v[132:133], v[138:139], -0.5, v[160:161]
	v_add_f64 v[130:131], v[142:143], v[130:131]
	v_add_f64 v[22:23], v[32:33], v[148:149]
	;; [unrolled: 1-line block ×3, first 2 shown]
	v_add_f64 v[102:103], v[62:63], -v[94:95]
	v_fma_f64 v[6:7], v[229:230], s[16:17], v[233:234]
	v_fma_f64 v[138:139], v[231:232], s[10:11], v[132:133]
	;; [unrolled: 1-line block ×3, first 2 shown]
	v_add_f64 v[10:11], v[16:17], v[112:113]
	v_add_f64 v[16:17], v[22:23], v[150:151]
	ds_write_b64 v223, v[0:1] offset:96
	ds_write2_b64 v227, v[10:11], v[12:13] offset1:3
	ds_write2_b64 v227, v[14:15], v[8:9] offset0:6 offset1:9
	ds_write_b64 v227, v[18:19] offset:96
	ds_write2_b64 v226, v[16:17], v[30:31] offset1:3
	ds_write2_b64 v226, v[28:29], v[20:21] offset0:6 offset1:9
	ds_write_b64 v226, v[2:3] offset:96
	v_fma_f64 v[138:139], v[229:230], s[14:15], v[138:139]
	v_fma_f64 v[132:133], v[229:230], s[6:7], v[132:133]
	;; [unrolled: 1-line block ×3, first 2 shown]
	s_waitcnt lgkmcnt(0)
	s_barrier
	buffer_gl0_inv
	v_add_f64 v[112:113], v[72:73], v[62:63]
	v_fma_f64 v[138:139], v[130:131], s[4:5], v[138:139]
	v_fma_f64 v[130:131], v[130:131], s[4:5], v[132:133]
	;; [unrolled: 1-line block ×3, first 2 shown]
	ds_read_b64 v[70:71], v193
	ds_read_b64 v[56:57], v214
	;; [unrolled: 1-line block ×7, first 2 shown]
	ds_read_b64 v[134:135], v193 offset:29000
	ds_read2_b64 v[8:11], v202 offset0:95 offset1:220
	ds_read2_b64 v[4:7], v201 offset0:77 offset1:202
	;; [unrolled: 1-line block ×11, first 2 shown]
	s_waitcnt lgkmcnt(0)
	s_barrier
	buffer_gl0_inv
	v_add_f64 v[132:133], v[158:159], v[66:67]
	v_fma_f64 v[112:113], v[112:113], -0.5, v[152:153]
	ds_write2_b64 v228, v[138:139], v[130:131] offset0:6 offset1:9
	v_fma_f64 v[130:131], v[229:230], s[10:11], v[233:234]
	ds_write2_b64 v228, v[237:238], v[239:240] offset1:3
	v_add_nc_u32_e32 v230, 0x5c00, v193
	v_add_nc_u32_e32 v229, 0xc00, v193
	v_add_f64 v[132:133], v[132:133], v[68:69]
	v_fma_f64 v[130:131], v[231:232], s[6:7], v[130:131]
	v_add_nc_u32_e32 v232, 0x2c00, v193
	v_add_nc_u32_e32 v231, 0x4400, v193
	v_fma_f64 v[130:131], v[235:236], s[4:5], v[130:131]
	ds_write_b64 v228, v[130:131] offset:96
	v_add_f64 v[130:131], v[66:67], v[122:123]
	v_add_f64 v[66:67], v[68:69], -v[66:67]
	v_fma_f64 v[68:69], v[78:79], s[16:17], v[128:129]
	v_fma_f64 v[128:129], v[78:79], s[10:11], v[128:129]
	v_add_nc_u32_e32 v228, 0x2400, v193
	v_fma_f64 v[130:131], v[130:131], -0.5, v[158:159]
	v_fma_f64 v[68:69], v[84:85], s[14:15], v[68:69]
	v_fma_f64 v[128:129], v[84:85], s[6:7], v[128:129]
	;; [unrolled: 1-line block ×4, first 2 shown]
	v_add_f64 v[130:131], v[132:133], v[106:107]
	v_add_f64 v[106:107], v[106:107], -v[122:123]
	v_fma_f64 v[68:69], v[126:127], s[4:5], v[68:69]
	v_fma_f64 v[126:127], v[126:127], s[4:5], v[128:129]
	v_add_f64 v[128:129], v[156:157], v[54:55]
	v_add_f64 v[132:133], v[146:147], v[96:97]
	;; [unrolled: 1-line block ×4, first 2 shown]
	v_fma_f64 v[106:107], v[78:79], s[14:15], v[138:139]
	v_fma_f64 v[78:79], v[78:79], s[6:7], v[84:85]
	v_add_f64 v[84:85], v[54:55], -v[76:77]
	v_add_f64 v[128:129], v[128:129], v[76:77]
	v_add_f64 v[54:55], v[76:77], -v[54:55]
	v_fma_f64 v[130:131], v[64:65], s[10:11], v[116:117]
	v_add_f64 v[132:133], v[132:133], v[100:101]
	ds_write2_b64 v222, v[122:123], v[68:69] offset1:3
	v_mul_lo_u16 v68, 0x89, v221
	v_fma_f64 v[106:107], v[66:67], s[4:5], v[106:107]
	v_fma_f64 v[66:67], v[66:67], s[4:5], v[78:79]
	v_add_f64 v[84:85], v[84:85], v[108:109]
	v_add_f64 v[108:109], v[76:77], v[88:89]
	v_lshrrev_b16 v224, 11, v68
	ds_write2_b64 v222, v[106:107], v[66:67] offset0:6 offset1:9
	v_mov_b32_e32 v106, 0x8889
	v_fma_f64 v[108:109], v[108:109], -0.5, v[156:157]
	v_fma_f64 v[76:77], v[58:59], s[16:17], v[108:109]
	v_fma_f64 v[108:109], v[58:59], s[10:11], v[108:109]
	;; [unrolled: 1-line block ×5, first 2 shown]
	v_add_f64 v[116:117], v[128:129], v[88:89]
	v_add_f64 v[88:89], v[88:89], -v[52:53]
	v_add_f64 v[128:129], v[154:155], v[82:83]
	v_fma_f64 v[76:77], v[84:85], s[4:5], v[76:77]
	v_fma_f64 v[78:79], v[84:85], s[4:5], v[108:109]
	v_add_f64 v[52:53], v[116:117], v[52:53]
	v_add_f64 v[54:55], v[54:55], v[88:89]
	v_fma_f64 v[88:89], v[58:59], s[14:15], v[130:131]
	v_fma_f64 v[58:59], v[58:59], s[6:7], v[64:65]
	v_add_f64 v[64:65], v[90:91], -v[124:125]
	v_add_f64 v[90:91], v[98:99], -v[114:115]
	;; [unrolled: 1-line block ×4, first 2 shown]
	v_add_f64 v[124:125], v[82:83], v[60:61]
	v_add_f64 v[128:129], v[128:129], v[86:87]
	v_add_f64 v[82:83], v[86:87], -v[82:83]
	ds_write_b64 v222, v[126:127] offset:96
	ds_write2_b64 v225, v[52:53], v[76:77] offset1:3
	v_mul_u32_u24_sdwa v52, v185, v106 dst_sel:DWORD dst_unused:UNUSED_PAD src0_sel:WORD_0 src1_sel:DWORD
	v_mul_lo_u16 v53, v224, 15
	v_fma_f64 v[84:85], v[54:55], s[4:5], v[88:89]
	v_fma_f64 v[54:55], v[54:55], s[4:5], v[58:59]
	v_lshrrev_b32_e32 v222, 19, v52
	v_add_f64 v[98:99], v[98:99], v[114:115]
	v_add_f64 v[114:115], v[86:87], v[104:105]
	v_fma_f64 v[124:125], v[124:125], -0.5, v[154:155]
	ds_write2_b64 v225, v[84:85], v[54:55] offset0:6 offset1:9
	v_fma_f64 v[114:115], v[114:115], -0.5, v[154:155]
	v_fma_f64 v[130:131], v[90:91], s[10:11], v[124:125]
	v_fma_f64 v[86:87], v[64:65], s[16:17], v[114:115]
	v_fma_f64 v[114:115], v[64:65], s[10:11], v[114:115]
	v_fma_f64 v[86:87], v[90:91], s[14:15], v[86:87]
	v_fma_f64 v[114:115], v[90:91], s[6:7], v[114:115]
	v_fma_f64 v[90:91], v[90:91], s[16:17], v[124:125]
	v_add_f64 v[124:125], v[128:129], v[104:105]
	v_add_f64 v[104:105], v[104:105], -v[60:61]
	v_add_f64 v[128:129], v[152:153], v[72:73]
	v_add_f64 v[58:59], v[124:125], v[60:61]
	;; [unrolled: 1-line block ×3, first 2 shown]
	v_fma_f64 v[104:105], v[64:65], s[14:15], v[130:131]
	v_fma_f64 v[64:65], v[64:65], s[6:7], v[90:91]
	v_add_f64 v[90:91], v[72:73], -v[92:93]
	v_add_f64 v[128:129], v[128:129], v[92:93]
	v_add_f64 v[72:73], v[92:93], -v[72:73]
	v_fma_f64 v[130:131], v[80:81], s[10:11], v[112:113]
	v_fma_f64 v[60:61], v[98:99], s[4:5], v[86:87]
	;; [unrolled: 1-line block ×3, first 2 shown]
	ds_write_b64 v225, v[78:79] offset:96
	ds_write2_b64 v223, v[58:59], v[60:61] offset1:3
	v_add_f64 v[90:91], v[90:91], v[102:103]
	v_add_f64 v[102:103], v[92:93], v[94:95]
	v_fma_f64 v[88:89], v[82:83], s[4:5], v[104:105]
	v_fma_f64 v[64:65], v[82:83], s[4:5], v[64:65]
	v_sub_nc_u16 v225, v184, v53
	v_mul_lo_u16 v59, v222, 15
	v_lshlrev_b32_sdwa v58, v162, v225 dst_sel:DWORD dst_unused:UNUSED_PAD src0_sel:DWORD src1_sel:BYTE_0
	v_fma_f64 v[102:103], v[102:103], -0.5, v[152:153]
	ds_write2_b64 v223, v[88:89], v[64:65] offset0:6 offset1:9
	v_fma_f64 v[92:93], v[74:75], s[16:17], v[102:103]
	v_fma_f64 v[102:103], v[74:75], s[10:11], v[102:103]
	;; [unrolled: 1-line block ×5, first 2 shown]
	v_add_f64 v[112:113], v[128:129], v[94:95]
	v_add_f64 v[94:95], v[94:95], -v[62:63]
	v_add_f64 v[128:129], v[140:141], -v[144:145]
	v_fma_f64 v[82:83], v[90:91], s[4:5], v[92:93]
	v_fma_f64 v[90:91], v[90:91], s[4:5], v[102:103]
	v_add_f64 v[62:63], v[112:113], v[62:63]
	v_add_f64 v[72:73], v[72:73], v[94:95]
	v_fma_f64 v[94:95], v[74:75], s[14:15], v[130:131]
	v_fma_f64 v[74:75], v[74:75], s[6:7], v[80:81]
	v_add_f64 v[80:81], v[110:111], -v[150:151]
	v_add_f64 v[110:111], v[118:119], -v[148:149]
	;; [unrolled: 1-line block ×3, first 2 shown]
	v_add_f64 v[130:131], v[96:97], v[140:141]
	v_add_f64 v[96:97], v[100:101], -v[96:97]
	ds_write_b64 v223, v[86:87] offset:96
	ds_write2_b64 v227, v[62:63], v[82:83] offset1:3
	v_sub_nc_u16 v223, v185, v59
	v_fma_f64 v[92:93], v[72:73], s[4:5], v[94:95]
	v_fma_f64 v[72:73], v[72:73], s[4:5], v[74:75]
	v_lshlrev_b32_sdwa v59, v162, v223 dst_sel:DWORD dst_unused:UNUSED_PAD src0_sel:DWORD src1_sel:WORD_0
	v_add_f64 v[118:119], v[118:119], v[128:129]
	v_add_f64 v[128:129], v[100:101], v[144:145]
	v_fma_f64 v[130:131], v[130:131], -0.5, v[146:147]
	v_add_f64 v[100:101], v[132:133], v[144:145]
	v_add_f64 v[132:133], v[144:145], -v[140:141]
	v_fma_f64 v[128:129], v[128:129], -0.5, v[146:147]
	v_add_f64 v[74:75], v[100:101], v[140:141]
	v_add_f64 v[96:97], v[96:97], v[132:133]
	v_fma_f64 v[132:133], v[110:111], s[10:11], v[130:131]
	v_fma_f64 v[130:131], v[110:111], s[16:17], v[130:131]
	;; [unrolled: 1-line block ×12, first 2 shown]
	ds_write2_b64 v227, v[92:93], v[72:73] offset0:6 offset1:9
	ds_write_b64 v227, v[90:91] offset:96
	ds_write2_b64 v226, v[74:75], v[94:95] offset1:3
	ds_write2_b64 v226, v[98:99], v[80:81] offset0:6 offset1:9
	v_add_nc_u32_e32 v227, 0x3400, v193
	ds_write_b64 v226, v[96:97] offset:96
	s_waitcnt lgkmcnt(0)
	s_barrier
	buffer_gl0_inv
	s_clause 0x7
	global_load_dwordx4 v[52:55], v58, s[8:9] offset:192
	global_load_dwordx4 v[64:67], v59, s[8:9] offset:192
	;; [unrolled: 1-line block ×8, first 2 shown]
	v_mul_u32_u24_sdwa v58, v186, v106 dst_sel:DWORD dst_unused:UNUSED_PAD src0_sel:WORD_0 src1_sel:DWORD
	v_add_nc_u32_e32 v226, 0x3c00, v193
	v_lshrrev_b32_e32 v140, 19, v58
	v_mul_lo_u16 v58, v140, 15
	v_sub_nc_u16 v141, v186, v58
	v_mul_u32_u24_sdwa v58, v194, v106 dst_sel:DWORD dst_unused:UNUSED_PAD src0_sel:WORD_0 src1_sel:DWORD
	v_lshlrev_b32_sdwa v84, v162, v141 dst_sel:DWORD dst_unused:UNUSED_PAD src0_sel:DWORD src1_sel:WORD_0
	v_lshrrev_b32_e32 v138, 19, v58
	global_load_dwordx4 v[114:117], v84, s[8:9] offset:192
	v_mul_lo_u16 v58, v138, 15
	v_sub_nc_u16 v139, v194, v58
	v_lshlrev_b32_sdwa v85, v162, v139 dst_sel:DWORD dst_unused:UNUSED_PAD src0_sel:DWORD src1_sel:WORD_0
	s_clause 0x3
	global_load_dwordx4 v[122:125], v85, s[8:9] offset:192
	global_load_dwordx4 v[126:129], v84, s[8:9] offset:208
	;; [unrolled: 1-line block ×4, first 2 shown]
	ds_read2_b64 v[94:97], v198 offset0:107 offset1:232
	s_clause 0x2
	global_load_dwordx4 v[150:153], v85, s[8:9] offset:224
	global_load_dwordx4 v[154:157], v84, s[8:9] offset:240
	;; [unrolled: 1-line block ×3, first 2 shown]
	s_waitcnt vmcnt(14) lgkmcnt(0)
	v_mul_f64 v[68:69], v[96:97], v[66:67]
	v_mul_f64 v[58:59], v[94:95], v[54:55]
	v_mul_f64 v[54:55], v[40:41], v[54:55]
	v_fma_f64 v[62:63], v[40:41], v[52:53], -v[58:59]
	v_fma_f64 v[60:61], v[94:95], v[52:53], v[54:55]
	v_mul_f64 v[52:53], v[42:43], v[66:67]
	v_fma_f64 v[58:59], v[42:43], v[64:65], -v[68:69]
	ds_read2_b64 v[40:43], v203 offset0:89 offset1:214
	s_waitcnt vmcnt(13)
	v_mul_f64 v[66:67], v[36:37], v[74:75]
	s_waitcnt lgkmcnt(0)
	v_mul_f64 v[54:55], v[40:41], v[74:75]
	s_waitcnt vmcnt(12)
	v_mul_f64 v[68:69], v[42:43], v[78:79]
	v_fma_f64 v[52:53], v[96:97], v[64:65], v[52:53]
	v_fma_f64 v[108:109], v[40:41], v[72:73], v[66:67]
	v_mul_f64 v[40:41], v[38:39], v[78:79]
	s_waitcnt vmcnt(11)
	v_mul_f64 v[66:67], v[32:33], v[82:83]
	v_fma_f64 v[64:65], v[36:37], v[72:73], -v[54:55]
	v_mul_lo_u16 v36, 0x89, v163
	v_fma_f64 v[96:97], v[38:39], v[76:77], -v[68:69]
	s_waitcnt vmcnt(7)
	v_mul_f64 v[68:69], v[24:25], v[116:117]
	s_waitcnt vmcnt(5)
	v_mul_f64 v[72:73], v[20:21], v[128:129]
	v_lshrrev_b16 v163, 11, v36
	ds_read2_b64 v[36:39], v195 offset0:71 offset1:196
	v_mul_lo_u16 v54, v163, 15
	v_sub_nc_u16 v166, v176, v54
	v_lshlrev_b32_sdwa v94, v162, v166 dst_sel:DWORD dst_unused:UNUSED_PAD src0_sel:DWORD src1_sel:BYTE_0
	s_waitcnt lgkmcnt(0)
	v_mul_f64 v[54:55], v[36:37], v[82:83]
	v_fma_f64 v[112:113], v[36:37], v[80:81], v[66:67]
	v_mul_f64 v[36:37], v[34:35], v[88:89]
	v_fma_f64 v[130:131], v[32:33], v[80:81], -v[54:55]
	v_mul_f64 v[32:33], v[38:39], v[88:89]
	v_fma_f64 v[82:83], v[38:39], v[86:87], v[36:37]
	v_mul_f64 v[38:39], v[28:29], v[92:93]
	v_fma_f64 v[100:101], v[34:35], v[86:87], -v[32:33]
	ds_read2_b64 v[32:35], v196 offset0:53 offset1:178
	s_waitcnt lgkmcnt(0)
	v_mul_f64 v[36:37], v[32:33], v[92:93]
	v_mul_f64 v[54:55], v[34:35], v[104:105]
	v_fma_f64 v[118:119], v[32:33], v[90:91], v[38:39]
	v_mul_f64 v[32:33], v[30:31], v[104:105]
	v_fma_f64 v[132:133], v[28:29], v[90:91], -v[36:37]
	v_mul_u32_u24_sdwa v28, v212, v106 dst_sel:DWORD dst_unused:UNUSED_PAD src0_sel:WORD_0 src1_sel:DWORD
	v_fma_f64 v[106:107], v[30:31], v[102:103], -v[54:55]
	v_fma_f64 v[54:55], v[34:35], v[102:103], v[32:33]
	ds_read2_b64 v[36:39], v206 offset0:101 offset1:226
	v_lshrrev_b32_e32 v28, 19, v28
	v_mul_lo_u16 v29, v28, 15
	v_sub_nc_u16 v29, v212, v29
	v_lshlrev_b32_sdwa v95, v162, v29 dst_sel:DWORD dst_unused:UNUSED_PAD src0_sel:DWORD src1_sel:WORD_0
	s_waitcnt lgkmcnt(0)
	v_mul_f64 v[66:67], v[36:37], v[116:117]
	v_fma_f64 v[78:79], v[36:37], v[114:115], v[68:69]
	global_load_dwordx4 v[30:33], v95, s[8:9] offset:192
	v_fma_f64 v[84:85], v[42:43], v[76:77], v[40:41]
	global_load_dwordx4 v[40:43], v94, s[8:9] offset:208
	ds_read2_b64 v[34:37], v207 offset0:83 offset1:208
	v_fma_f64 v[86:87], v[24:25], v[114:115], -v[66:67]
	v_mul_f64 v[66:67], v[26:27], v[124:125]
	v_mul_f64 v[24:25], v[38:39], v[124:125]
	s_waitcnt lgkmcnt(0)
	v_mul_f64 v[68:69], v[34:35], v[128:129]
	v_fma_f64 v[80:81], v[34:35], v[126:127], v[72:73]
	s_waitcnt vmcnt(6)
	v_mul_f64 v[34:35], v[22:23], v[144:145]
	v_fma_f64 v[66:67], v[38:39], v[122:123], v[66:67]
	v_mul_f64 v[38:39], v[36:37], v[144:145]
	v_fma_f64 v[74:75], v[26:27], v[122:123], -v[24:25]
	ds_read2_b64 v[24:27], v208 offset0:65 offset1:190
	v_fma_f64 v[88:89], v[20:21], v[126:127], -v[68:69]
	s_waitcnt vmcnt(5)
	v_mul_f64 v[68:69], v[16:17], v[148:149]
	v_fma_f64 v[90:91], v[36:37], v[142:143], v[34:35]
	ds_read2_b64 v[34:37], v211 offset0:47 offset1:172
	v_fma_f64 v[76:77], v[22:23], v[142:143], -v[38:39]
	global_load_dwordx4 v[20:23], v94, s[8:9] offset:224
	s_waitcnt lgkmcnt(1)
	v_mul_f64 v[38:39], v[24:25], v[148:149]
	v_fma_f64 v[102:103], v[24:25], v[146:147], v[68:69]
	s_waitcnt vmcnt(5)
	v_mul_f64 v[24:25], v[18:19], v[152:153]
	s_waitcnt vmcnt(4)
	v_mul_f64 v[68:69], v[12:13], v[156:157]
	v_fma_f64 v[114:115], v[16:17], v[146:147], -v[38:39]
	global_load_dwordx4 v[144:147], v95, s[8:9] offset:208
	s_waitcnt lgkmcnt(0)
	v_mul_f64 v[38:39], v[34:35], v[156:157]
	v_mul_f64 v[16:17], v[26:27], v[152:153]
	v_fma_f64 v[92:93], v[26:27], v[150:151], v[24:25]
	v_fma_f64 v[68:69], v[34:35], v[154:155], v[68:69]
	s_waitcnt vmcnt(4)
	v_mul_f64 v[34:35], v[14:15], v[160:161]
	v_fma_f64 v[124:125], v[12:13], v[154:155], -v[38:39]
	v_mul_f64 v[12:13], v[36:37], v[160:161]
	v_fma_f64 v[98:99], v[18:19], v[150:151], -v[16:17]
	s_clause 0x1
	global_load_dwordx4 v[16:19], v94, s[8:9] offset:240
	global_load_dwordx4 v[24:27], v94, s[8:9] offset:192
	v_fma_f64 v[72:73], v[36:37], v[158:159], v[34:35]
	ds_read2_b64 v[34:37], v202 offset0:95 offset1:220
	ds_read_b64 v[160:161], v214
	v_fma_f64 v[116:117], v[14:15], v[158:159], -v[12:13]
	global_load_dwordx4 v[12:15], v95, s[8:9] offset:224
	s_waitcnt vmcnt(5) lgkmcnt(1)
	v_mul_f64 v[38:39], v[36:37], v[42:43]
	v_mul_f64 v[42:43], v[10:11], v[42:43]
	v_fma_f64 v[10:11], v[10:11], v[40:41], -v[38:39]
	v_fma_f64 v[150:151], v[36:37], v[40:41], v[42:43]
	global_load_dwordx4 v[36:39], v95, s[8:9] offset:240
	v_mul_f64 v[40:41], v[34:35], v[32:33]
	v_fma_f64 v[122:123], v[8:9], v[30:31], -v[40:41]
	v_mul_f64 v[8:9], v[8:9], v[32:33]
	v_fma_f64 v[94:95], v[34:35], v[30:31], v[8:9]
	ds_read2_b64 v[30:33], v201 offset0:77 offset1:202
	s_waitcnt vmcnt(5) lgkmcnt(0)
	v_mul_f64 v[8:9], v[32:33], v[22:23]
	v_mul_f64 v[22:23], v[6:7], v[22:23]
	v_fma_f64 v[6:7], v[6:7], v[20:21], -v[8:9]
	s_waitcnt vmcnt(4)
	v_mul_f64 v[8:9], v[30:31], v[146:147]
	v_fma_f64 v[142:143], v[32:33], v[20:21], v[22:23]
	v_mul_f64 v[20:21], v[4:5], v[146:147]
	ds_read_b64 v[32:33], v213
	v_add_f64 v[239:240], v[10:11], -v[6:7]
	v_fma_f64 v[126:127], v[4:5], v[144:145], -v[8:9]
	s_waitcnt vmcnt(3)
	v_mul_f64 v[4:5], v[2:3], v[18:19]
	v_fma_f64 v[104:105], v[30:31], v[144:145], v[20:21]
	ds_read2_b64 v[20:23], v199 offset0:59 offset1:184
	v_lshlrev_b32_sdwa v30, v219, v166 dst_sel:DWORD dst_unused:UNUSED_PAD src0_sel:DWORD src1_sel:BYTE_0
	v_lshlrev_b32_sdwa v31, v219, v141 dst_sel:DWORD dst_unused:UNUSED_PAD src0_sel:DWORD src1_sel:WORD_0
	v_mov_b32_e32 v166, 0x1770
	s_waitcnt lgkmcnt(0)
	v_mul_f64 v[18:19], v[22:23], v[18:19]
	v_fma_f64 v[146:147], v[22:23], v[16:17], v[4:5]
	s_waitcnt vmcnt(1)
	v_mul_f64 v[22:23], v[20:21], v[14:15]
	v_mul_f64 v[14:15], v[0:1], v[14:15]
	v_fma_f64 v[2:3], v[2:3], v[16:17], -v[18:19]
	v_fma_f64 v[128:129], v[0:1], v[12:13], -v[22:23]
	ds_read_b64 v[22:23], v193 offset:29000
	v_mul_f64 v[8:9], v[32:33], v[26:27]
	v_mul_f64 v[26:27], v[136:137], v[26:27]
	v_fma_f64 v[110:111], v[20:21], v[12:13], v[14:15]
	v_add_f64 v[20:21], v[150:151], -v[142:143]
	v_add_f64 v[12:13], v[2:3], -v[6:7]
	v_fma_f64 v[4:5], v[136:137], v[24:25], -v[8:9]
	v_add_f64 v[8:9], v[10:11], v[6:7]
	v_fma_f64 v[148:149], v[32:33], v[24:25], v[26:27]
	v_add_f64 v[16:17], v[70:71], v[4:5]
	v_fma_f64 v[8:9], v[8:9], -0.5, v[70:71]
	v_add_f64 v[18:19], v[148:149], -v[146:147]
	v_add_f64 v[0:1], v[4:5], -v[10:11]
	;; [unrolled: 1-line block ×3, first 2 shown]
	v_add_f64 v[14:15], v[16:17], v[10:11]
	v_fma_f64 v[16:17], v[18:19], s[10:11], v[8:9]
	v_add_f64 v[12:13], v[0:1], v[12:13]
	v_fma_f64 v[8:9], v[18:19], s[16:17], v[8:9]
	;; [unrolled: 2-line block ×3, first 2 shown]
	v_fma_f64 v[8:9], v[20:21], s[14:15], v[8:9]
	v_add_f64 v[26:27], v[0:1], v[2:3]
	v_mov_b32_e32 v0, 0x258
	v_fma_f64 v[14:15], v[12:13], s[4:5], v[14:15]
	v_fma_f64 v[8:9], v[12:13], s[4:5], v[8:9]
	v_mul_u32_u24_sdwa v1, v163, v0 dst_sel:DWORD dst_unused:UNUSED_PAD src0_sel:WORD_0 src1_sel:DWORD
	ds_read_b64 v[162:163], v193
	ds_read_b64 v[158:159], v215
	;; [unrolled: 1-line block ×5, first 2 shown]
	s_waitcnt vmcnt(0) lgkmcnt(0)
	s_barrier
	buffer_gl0_inv
	v_add3_u32 v234, 0, v1, v30
	v_mul_u32_u24_sdwa v0, v224, v0 dst_sel:DWORD dst_unused:UNUSED_PAD src0_sel:WORD_0 src1_sel:DWORD
	v_lshlrev_b32_sdwa v1, v219, v225 dst_sel:DWORD dst_unused:UNUSED_PAD src0_sel:DWORD src1_sel:BYTE_0
	v_mul_u32_u24_e32 v30, 0x258, v140
	v_add_nc_u32_e32 v225, 0x4c00, v193
	v_add_nc_u32_e32 v224, 0x5400, v193
	v_add3_u32 v233, 0, v30, v31
	v_add_f64 v[30:31], v[90:91], -v[92:93]
	ds_write2_b64 v234, v[26:27], v[14:15] offset1:15
	v_add_f64 v[14:15], v[4:5], v[2:3]
	v_mul_u32_u24_e32 v26, 0x258, v222
	v_lshlrev_b32_sdwa v27, v219, v223 dst_sel:DWORD dst_unused:UNUSED_PAD src0_sel:DWORD src1_sel:WORD_0
	v_add_nc_u32_e32 v223, 0x6400, v193
	v_add_nc_u32_e32 v222, 0x6c00, v193
	v_fma_f64 v[14:15], v[14:15], -0.5, v[70:71]
	v_add3_u32 v70, 0, v0, v1
	v_mul_f64 v[16:17], v[22:23], v[38:39]
	v_mul_f64 v[24:25], v[134:135], v[38:39]
	v_add_f64 v[0:1], v[56:57], v[62:63]
	v_add3_u32 v71, 0, v26, v27
	v_add_f64 v[26:27], v[78:79], -v[68:69]
	v_fma_f64 v[134:135], v[134:135], v[36:37], -v[16:17]
	v_fma_f64 v[144:145], v[22:23], v[36:37], v[24:25]
	v_add_f64 v[16:17], v[10:11], -v[4:5]
	v_add_f64 v[22:23], v[6:7], -v[2:3]
	v_add_f64 v[0:1], v[0:1], v[64:65]
	v_add_f64 v[2:3], v[148:149], -v[150:151]
	v_add_f64 v[6:7], v[146:147], -v[142:143]
	v_add_f64 v[10:11], v[162:163], v[148:149]
	v_add_f64 v[34:35], v[134:135], -v[128:129]
	v_add_f64 v[16:17], v[16:17], v[22:23]
	v_fma_f64 v[22:23], v[20:21], s[16:17], v[14:15]
	v_fma_f64 v[14:15], v[20:21], s[10:11], v[14:15]
	v_add_f64 v[20:21], v[132:133], -v[130:131]
	v_add_f64 v[0:1], v[0:1], v[130:131]
	v_add_f64 v[243:244], v[2:3], v[6:7]
	;; [unrolled: 1-line block ×3, first 2 shown]
	v_fma_f64 v[22:23], v[18:19], s[6:7], v[22:23]
	v_fma_f64 v[14:15], v[18:19], s[14:15], v[14:15]
	v_add_f64 v[0:1], v[0:1], v[132:133]
	v_add_f64 v[2:3], v[2:3], v[142:143]
	v_fma_f64 v[18:19], v[16:17], s[4:5], v[22:23]
	v_fma_f64 v[14:15], v[16:17], s[4:5], v[14:15]
	v_add_f64 v[16:17], v[62:63], -v[64:65]
	v_add_f64 v[22:23], v[60:61], -v[118:119]
	v_add_f64 v[245:246], v[2:3], v[146:147]
	ds_write2_b64 v234, v[18:19], v[14:15] offset0:30 offset1:45
	v_add_f64 v[14:15], v[62:63], v[132:133]
	v_add_f64 v[12:13], v[16:17], v[20:21]
	v_add_f64 v[16:17], v[108:109], -v[112:113]
	v_add_f64 v[18:19], v[64:65], -v[62:63]
	;; [unrolled: 1-line block ×5, first 2 shown]
	v_fma_f64 v[14:15], v[14:15], -0.5, v[56:57]
	v_add_f64 v[18:19], v[18:19], v[20:21]
	v_fma_f64 v[20:21], v[16:17], s[16:17], v[14:15]
	v_fma_f64 v[14:15], v[16:17], s[10:11], v[14:15]
	;; [unrolled: 1-line block ×6, first 2 shown]
	v_add_f64 v[18:19], v[64:65], v[130:131]
	v_add_f64 v[64:65], v[64:65], -v[130:131]
	v_add_f64 v[130:131], v[60:61], -v[108:109]
	v_fma_f64 v[18:19], v[18:19], -0.5, v[56:57]
	v_add_f64 v[130:131], v[130:131], v[132:133]
	v_add_f64 v[132:133], v[160:161], v[60:61]
	v_fma_f64 v[24:25], v[22:23], s[10:11], v[18:19]
	v_fma_f64 v[18:19], v[22:23], s[16:17], v[18:19]
	v_add_f64 v[132:133], v[132:133], v[108:109]
	v_fma_f64 v[22:23], v[16:17], s[6:7], v[24:25]
	v_fma_f64 v[16:17], v[16:17], s[14:15], v[18:19]
	v_add_f64 v[18:19], v[58:59], v[106:107]
	v_add_f64 v[132:133], v[132:133], v[112:113]
	v_fma_f64 v[22:23], v[12:13], s[4:5], v[22:23]
	ds_write_b64 v234, v[8:9] offset:480
	ds_write2_b64 v70, v[0:1], v[22:23] offset1:15
	ds_write2_b64 v70, v[20:21], v[14:15] offset0:30 offset1:45
	v_add_f64 v[0:1], v[58:59], -v[96:97]
	v_add_f64 v[8:9], v[106:107], -v[100:101]
	;; [unrolled: 1-line block ×5, first 2 shown]
	v_fma_f64 v[18:19], v[18:19], -0.5, v[50:51]
	v_fma_f64 v[12:13], v[12:13], s[4:5], v[16:17]
	v_add_f64 v[16:17], v[96:97], v[100:101]
	v_add_f64 v[132:133], v[132:133], v[118:119]
	;; [unrolled: 1-line block ×3, first 2 shown]
	v_add_f64 v[8:9], v[52:53], -v[54:55]
	v_add_f64 v[20:21], v[20:21], v[22:23]
	v_fma_f64 v[22:23], v[14:15], s[16:17], v[18:19]
	v_fma_f64 v[18:19], v[14:15], s[10:11], v[18:19]
	v_fma_f64 v[16:17], v[16:17], -0.5, v[50:51]
	v_fma_f64 v[22:23], v[8:9], s[6:7], v[22:23]
	v_fma_f64 v[18:19], v[8:9], s[14:15], v[18:19]
	;; [unrolled: 1-line block ×4, first 2 shown]
	v_add_f64 v[16:17], v[50:51], v[58:59]
	v_add_f64 v[58:59], v[58:59], -v[106:107]
	v_fma_f64 v[22:23], v[20:21], s[4:5], v[22:23]
	v_fma_f64 v[18:19], v[20:21], s[4:5], v[18:19]
	;; [unrolled: 1-line block ×3, first 2 shown]
	v_add_f64 v[20:21], v[86:87], v[124:125]
	v_add_f64 v[16:17], v[16:17], v[96:97]
	v_fma_f64 v[8:9], v[14:15], s[14:15], v[8:9]
	v_add_f64 v[14:15], v[88:89], v[114:115]
	v_add_f64 v[96:97], v[96:97], -v[100:101]
	v_fma_f64 v[24:25], v[0:1], s[4:5], v[24:25]
	v_fma_f64 v[20:21], v[20:21], -0.5, v[48:49]
	v_add_f64 v[16:17], v[16:17], v[100:101]
	v_fma_f64 v[0:1], v[0:1], s[4:5], v[8:9]
	v_add_f64 v[8:9], v[48:49], v[86:87]
	v_fma_f64 v[14:15], v[14:15], -0.5, v[48:49]
	v_add_f64 v[100:101], v[52:53], -v[84:85]
	v_add_f64 v[16:17], v[16:17], v[106:107]
	ds_write_b64 v70, v[12:13] offset:480
	ds_write2_b64 v71, v[16:17], v[24:25] offset1:15
	v_add_f64 v[12:13], v[86:87], -v[88:89]
	v_add_f64 v[16:17], v[124:125], -v[114:115]
	;; [unrolled: 1-line block ×3, first 2 shown]
	ds_write2_b64 v71, v[22:23], v[18:19] offset0:30 offset1:45
	v_add_f64 v[18:19], v[88:89], -v[86:87]
	v_add_f64 v[22:23], v[114:115], -v[124:125]
	v_add_f64 v[8:9], v[8:9], v[88:89]
	ds_write_b64 v71, v[0:1] offset:480
	v_add_f64 v[0:1], v[76:77], v[98:99]
	v_add_f64 v[106:107], v[54:55], -v[82:83]
	v_add_f64 v[86:87], v[86:87], -v[124:125]
	;; [unrolled: 1-line block ×3, first 2 shown]
	v_add_f64 v[12:13], v[12:13], v[16:17]
	v_fma_f64 v[16:17], v[24:25], s[16:17], v[20:21]
	v_fma_f64 v[20:21], v[24:25], s[10:11], v[20:21]
	v_add_f64 v[18:19], v[18:19], v[22:23]
	v_fma_f64 v[22:23], v[26:27], s[10:11], v[14:15]
	v_add_f64 v[8:9], v[8:9], v[114:115]
	v_fma_f64 v[0:1], v[0:1], -0.5, v[46:47]
	v_add_f64 v[100:101], v[100:101], v[106:107]
	v_add_f64 v[106:107], v[84:85], v[82:83]
	;; [unrolled: 1-line block ×3, first 2 shown]
	v_fma_f64 v[16:17], v[26:27], s[6:7], v[16:17]
	v_fma_f64 v[20:21], v[26:27], s[14:15], v[20:21]
	;; [unrolled: 1-line block ×3, first 2 shown]
	v_add_f64 v[8:9], v[8:9], v[124:125]
	v_fma_f64 v[106:107], v[106:107], -0.5, v[158:159]
	v_fma_f64 v[114:115], v[114:115], -0.5, v[156:157]
	v_fma_f64 v[16:17], v[18:19], s[4:5], v[16:17]
	v_fma_f64 v[18:19], v[18:19], s[4:5], v[20:21]
	v_add_f64 v[20:21], v[74:75], v[116:117]
	v_fma_f64 v[22:23], v[12:13], s[4:5], v[22:23]
	ds_write2_b64 v233, v[8:9], v[22:23] offset1:15
	ds_write2_b64 v233, v[16:17], v[18:19] offset0:30 offset1:45
	v_fma_f64 v[20:21], v[20:21], -0.5, v[46:47]
	v_fma_f64 v[8:9], v[26:27], s[16:17], v[14:15]
	v_add_f64 v[14:15], v[76:77], -v[74:75]
	v_add_f64 v[16:17], v[98:99], -v[116:117]
	;; [unrolled: 1-line block ×4, first 2 shown]
	v_fma_f64 v[124:125], v[88:89], s[10:11], v[114:115]
	v_fma_f64 v[22:23], v[30:31], s[16:17], v[20:21]
	;; [unrolled: 1-line block ×4, first 2 shown]
	v_add_f64 v[24:25], v[74:75], -v[76:77]
	v_add_f64 v[14:15], v[14:15], v[16:17]
	v_fma_f64 v[16:17], v[18:19], s[10:11], v[0:1]
	v_fma_f64 v[0:1], v[18:19], s[16:17], v[0:1]
	;; [unrolled: 1-line block ×4, first 2 shown]
	v_add_f64 v[20:21], v[122:123], v[134:135]
	v_fma_f64 v[8:9], v[12:13], s[4:5], v[8:9]
	v_add_f64 v[12:13], v[24:25], v[26:27]
	v_fma_f64 v[16:17], v[30:31], s[6:7], v[16:17]
	v_fma_f64 v[0:1], v[30:31], s[14:15], v[0:1]
	v_add_f64 v[24:25], v[104:105], -v[110:111]
	v_add_f64 v[26:27], v[126:127], -v[122:123]
	;; [unrolled: 1-line block ×3, first 2 shown]
	v_fma_f64 v[22:23], v[14:15], s[4:5], v[22:23]
	v_fma_f64 v[14:15], v[14:15], s[4:5], v[18:19]
	v_fma_f64 v[20:21], v[20:21], -0.5, v[44:45]
	v_add_f64 v[18:19], v[126:127], v[128:129]
	v_fma_f64 v[16:17], v[12:13], s[4:5], v[16:17]
	v_fma_f64 v[0:1], v[12:13], s[4:5], v[0:1]
	v_add_f64 v[12:13], v[94:95], -v[144:145]
	v_add_f64 v[26:27], v[26:27], v[30:31]
	v_fma_f64 v[30:31], v[24:25], s[16:17], v[20:21]
	v_fma_f64 v[20:21], v[24:25], s[10:11], v[20:21]
	v_fma_f64 v[18:19], v[18:19], -0.5, v[44:45]
	v_fma_f64 v[30:31], v[12:13], s[6:7], v[30:31]
	v_fma_f64 v[20:21], v[12:13], s[14:15], v[20:21]
	;; [unrolled: 1-line block ×4, first 2 shown]
	v_add_f64 v[18:19], v[122:123], -v[126:127]
	v_fma_f64 v[30:31], v[26:27], s[4:5], v[30:31]
	v_fma_f64 v[20:21], v[26:27], s[4:5], v[20:21]
	v_add_f64 v[26:27], v[150:151], v[142:143]
	v_add_f64 v[150:151], v[150:151], -v[148:149]
	v_add_f64 v[148:149], v[148:149], v[146:147]
	v_add_f64 v[142:143], v[142:143], -v[146:147]
	v_fma_f64 v[32:33], v[24:25], s[6:7], v[32:33]
	v_fma_f64 v[12:13], v[24:25], s[14:15], v[12:13]
	v_add_f64 v[24:25], v[46:47], v[74:75]
	v_add_f64 v[18:19], v[18:19], v[34:35]
	;; [unrolled: 1-line block ×3, first 2 shown]
	v_add_f64 v[74:75], v[74:75], -v[116:117]
	v_fma_f64 v[241:242], v[26:27], -0.5, v[162:163]
	v_fma_f64 v[146:147], v[148:149], -0.5, v[162:163]
	v_add_f64 v[142:143], v[150:151], v[142:143]
	v_add_f64 v[24:25], v[24:25], v[76:77]
	v_fma_f64 v[4:5], v[18:19], s[4:5], v[12:13]
	v_add_f64 v[34:35], v[34:35], v[126:127]
	v_fma_f64 v[32:33], v[18:19], s[4:5], v[32:33]
	v_add_f64 v[76:77], v[76:77], -v[98:99]
	v_fma_f64 v[6:7], v[237:238], s[16:17], v[241:242]
	v_fma_f64 v[148:149], v[239:240], s[10:11], v[146:147]
	;; [unrolled: 1-line block ×3, first 2 shown]
	v_add_f64 v[12:13], v[24:25], v[98:99]
	v_mul_u32_u24_e32 v24, 0x258, v28
	v_add_f64 v[18:19], v[34:35], v[128:129]
	v_lshlrev_b32_sdwa v25, v219, v29 dst_sel:DWORD dst_unused:UNUSED_PAD src0_sel:DWORD src1_sel:WORD_0
	v_add_f64 v[98:99], v[72:73], -v[92:93]
	v_add3_u32 v235, 0, v24, v25
	v_fma_f64 v[6:7], v[239:240], s[14:15], v[6:7]
	v_fma_f64 v[148:149], v[237:238], s[14:15], v[148:149]
	;; [unrolled: 1-line block ×3, first 2 shown]
	v_add_f64 v[10:11], v[12:13], v[116:117]
	v_add_f64 v[116:117], v[66:67], v[72:73]
	;; [unrolled: 1-line block ×3, first 2 shown]
	v_mul_u32_u24_e32 v18, 0x258, v138
	v_lshlrev_b32_sdwa v19, v219, v139 dst_sel:DWORD dst_unused:UNUSED_PAD src0_sel:DWORD src1_sel:WORD_0
	v_add3_u32 v236, 0, v18, v19
	ds_write_b64 v233, v[8:9] offset:480
	ds_write2_b64 v236, v[10:11], v[16:17] offset1:15
	ds_write2_b64 v236, v[22:23], v[14:15] offset0:30 offset1:45
	ds_write_b64 v236, v[0:1] offset:480
	ds_write2_b64 v235, v[12:13], v[32:33] offset1:15
	ds_write2_b64 v235, v[30:31], v[20:21] offset0:30 offset1:45
	ds_write_b64 v235, v[4:5] offset:480
	v_fma_f64 v[148:149], v[142:143], s[4:5], v[148:149]
	v_fma_f64 v[142:143], v[142:143], s[4:5], v[146:147]
	;; [unrolled: 1-line block ×3, first 2 shown]
	s_waitcnt lgkmcnt(0)
	s_barrier
	buffer_gl0_inv
	ds_read_b64 v[136:137], v216
	ds_read_b64 v[138:139], v220
	;; [unrolled: 1-line block ×6, first 2 shown]
	ds_read2_b64 v[44:47], v232 offset0:92 offset1:217
	ds_read2_b64 v[20:23], v227 offset0:86 offset1:211
	;; [unrolled: 1-line block ×12, first 2 shown]
	s_waitcnt lgkmcnt(0)
	s_barrier
	buffer_gl0_inv
	v_fma_f64 v[116:117], v[116:117], -0.5, v[154:155]
	ds_write2_b64 v234, v[148:149], v[142:143] offset0:30 offset1:45
	v_fma_f64 v[142:143], v[237:238], s[10:11], v[241:242]
	ds_write2_b64 v234, v[245:246], v[247:248] offset1:15
	v_fma_f64 v[142:143], v[239:240], s[6:7], v[142:143]
	v_fma_f64 v[142:143], v[243:244], s[4:5], v[142:143]
	ds_write_b64 v234, v[142:143] offset:480
	v_add_f64 v[142:143], v[108:109], v[112:113]
	v_add_f64 v[108:109], v[108:109], -v[60:61]
	v_add_f64 v[60:61], v[60:61], v[118:119]
	v_add_f64 v[112:113], v[112:113], -v[118:119]
	v_fma_f64 v[142:143], v[142:143], -0.5, v[160:161]
	v_fma_f64 v[60:61], v[60:61], -0.5, v[160:161]
	v_add_f64 v[108:109], v[108:109], v[112:113]
	v_fma_f64 v[146:147], v[62:63], s[16:17], v[142:143]
	v_fma_f64 v[118:119], v[62:63], s[10:11], v[142:143]
	;; [unrolled: 1-line block ×11, first 2 shown]
	v_add_f64 v[108:109], v[52:53], v[54:55]
	v_add_f64 v[112:113], v[158:159], v[52:53]
	v_add_f64 v[52:53], v[84:85], -v[52:53]
	v_fma_f64 v[62:63], v[130:131], s[4:5], v[62:63]
	ds_write2_b64 v70, v[132:133], v[146:147] offset1:15
	ds_write2_b64 v70, v[64:65], v[60:61] offset0:30 offset1:45
	v_fma_f64 v[108:109], v[108:109], -0.5, v[158:159]
	v_add_f64 v[112:113], v[112:113], v[84:85]
	v_fma_f64 v[84:85], v[58:59], s[16:17], v[106:107]
	v_fma_f64 v[106:107], v[58:59], s[10:11], v[106:107]
	;; [unrolled: 1-line block ×6, first 2 shown]
	v_add_f64 v[108:109], v[112:113], v[82:83]
	v_add_f64 v[82:83], v[82:83], -v[54:55]
	v_add_f64 v[112:113], v[68:69], -v[102:103]
	v_fma_f64 v[84:85], v[100:101], s[4:5], v[84:85]
	v_fma_f64 v[100:101], v[100:101], s[4:5], v[106:107]
	v_add_f64 v[54:55], v[108:109], v[54:55]
	v_add_f64 v[52:53], v[52:53], v[82:83]
	v_fma_f64 v[82:83], v[58:59], s[14:15], v[118:119]
	v_fma_f64 v[58:59], v[58:59], s[6:7], v[96:97]
	v_add_f64 v[96:97], v[78:79], -v[80:81]
	v_add_f64 v[118:119], v[156:157], v[78:79]
	v_add_f64 v[78:79], v[80:81], -v[78:79]
	ds_write_b64 v70, v[62:63] offset:480
	ds_write2_b64 v71, v[54:55], v[84:85] offset1:15
	v_mul_lo_u16 v54, 0xdb, v221
	v_mov_b32_e32 v62, 9
	v_fma_f64 v[82:83], v[52:53], s[4:5], v[82:83]
	v_fma_f64 v[52:53], v[52:53], s[4:5], v[58:59]
	v_add_f64 v[96:97], v[96:97], v[112:113]
	v_add_f64 v[112:113], v[80:81], v[102:103]
	;; [unrolled: 1-line block ×3, first 2 shown]
	v_lshrrev_b16 v162, 14, v54
	v_mov_b32_e32 v63, 0xb4e9
	v_mul_lo_u16 v54, 0x4b, v162
	v_mul_u32_u24_sdwa v63, v185, v63 dst_sel:DWORD dst_unused:UNUSED_PAD src0_sel:WORD_0 src1_sel:DWORD
	v_sub_nc_u16 v163, v184, v54
	v_lshrrev_b32_e32 v63, 16, v63
	v_fma_f64 v[112:113], v[112:113], -0.5, v[156:157]
	v_fma_f64 v[80:81], v[86:87], s[16:17], v[112:113]
	v_fma_f64 v[112:113], v[86:87], s[10:11], v[112:113]
	;; [unrolled: 1-line block ×5, first 2 shown]
	v_add_f64 v[114:115], v[118:119], v[102:103]
	v_add_f64 v[102:103], v[102:103], -v[68:69]
	v_add_f64 v[118:119], v[154:155], v[66:67]
	v_fma_f64 v[60:61], v[96:97], s[4:5], v[112:113]
	v_add_f64 v[58:59], v[114:115], v[68:69]
	v_add_f64 v[78:79], v[78:79], v[102:103]
	v_fma_f64 v[102:103], v[86:87], s[14:15], v[124:125]
	v_fma_f64 v[86:87], v[86:87], s[6:7], v[88:89]
	v_add_f64 v[88:89], v[66:67], -v[90:91]
	v_add_f64 v[118:119], v[118:119], v[90:91]
	v_add_f64 v[66:67], v[90:91], -v[66:67]
	v_fma_f64 v[124:125], v[76:77], s[10:11], v[116:117]
	v_fma_f64 v[68:69], v[96:97], s[4:5], v[80:81]
	;; [unrolled: 1-line block ×4, first 2 shown]
	v_add_f64 v[88:89], v[88:89], v[98:99]
	v_add_f64 v[98:99], v[90:91], v[92:93]
	ds_write2_b64 v71, v[82:83], v[52:53] offset0:30 offset1:45
	ds_write_b64 v71, v[100:101] offset:480
	ds_write2_b64 v233, v[58:59], v[68:69] offset1:15
	ds_write2_b64 v233, v[80:81], v[78:79] offset0:30 offset1:45
	v_sub_nc_u16 v68, v185, v63
	v_fma_f64 v[98:99], v[98:99], -0.5, v[154:155]
	v_lshrrev_b16 v68, 1, v68
	v_add_nc_u16 v63, v68, v63
	v_lshrrev_b16 v160, 6, v63
	v_mul_lo_u16 v63, 0x4b, v160
	v_sub_nc_u16 v161, v185, v63
	v_fma_f64 v[90:91], v[74:75], s[16:17], v[98:99]
	v_fma_f64 v[98:99], v[74:75], s[10:11], v[98:99]
	;; [unrolled: 1-line block ×5, first 2 shown]
	v_add_f64 v[116:117], v[118:119], v[92:93]
	v_add_f64 v[92:93], v[92:93], -v[72:73]
	v_add_f64 v[118:119], v[126:127], -v[128:129]
	v_add_f64 v[128:129], v[152:153], v[94:95]
	v_add_f64 v[126:127], v[94:95], v[144:145]
	v_fma_f64 v[86:87], v[88:89], s[4:5], v[98:99]
	v_add_nc_u32_e32 v98, 0xffffffb5, v176
	v_add_f64 v[64:65], v[116:117], v[72:73]
	v_add_f64 v[66:67], v[66:67], v[92:93]
	v_fma_f64 v[92:93], v[74:75], s[14:15], v[124:125]
	v_fma_f64 v[74:75], v[74:75], s[6:7], v[76:77]
	v_add_f64 v[76:77], v[122:123], -v[134:135]
	v_add_f64 v[122:123], v[94:95], -v[104:105]
	;; [unrolled: 1-line block ×3, first 2 shown]
	v_add_f64 v[128:129], v[128:129], v[104:105]
	v_fma_f64 v[126:127], v[126:127], -0.5, v[152:153]
	v_add_f64 v[94:95], v[104:105], -v[94:95]
	v_fma_f64 v[72:73], v[88:89], s[4:5], v[90:91]
	v_cndmask_b32_e64 v108, v98, v176, s0
	ds_write_b64 v233, v[60:61] offset:480
	ds_write2_b64 v236, v[64:65], v[72:73] offset1:15
	v_add_f64 v[122:123], v[122:123], v[124:125]
	v_add_f64 v[124:125], v[104:105], v[110:111]
	;; [unrolled: 1-line block ×3, first 2 shown]
	v_add_f64 v[110:111], v[110:111], -v[144:145]
	v_fma_f64 v[88:89], v[66:67], s[4:5], v[92:93]
	v_fma_f64 v[66:67], v[66:67], s[4:5], v[74:75]
	ds_write2_b64 v236, v[88:89], v[66:67] offset0:30 offset1:45
	ds_write_b64 v236, v[86:87] offset:480
	v_fma_f64 v[124:125], v[124:125], -0.5, v[152:153]
	v_add_f64 v[94:95], v[94:95], v[110:111]
	v_fma_f64 v[110:111], v[118:119], s[10:11], v[126:127]
	v_fma_f64 v[126:127], v[118:119], s[16:17], v[126:127]
	v_add_f64 v[74:75], v[104:105], v[144:145]
	v_fma_f64 v[128:129], v[76:77], s[16:17], v[124:125]
	v_fma_f64 v[124:125], v[76:77], s[10:11], v[124:125]
	;; [unrolled: 1-line block ×8, first 2 shown]
	v_mul_i32_i24_e32 v76, 9, v108
	v_mov_b32_e32 v77, 0
	v_lshlrev_b64 v[52:53], 4, v[76:77]
	v_fma_f64 v[92:93], v[122:123], s[4:5], v[126:127]
	v_fma_f64 v[96:97], v[122:123], s[4:5], v[118:119]
	ds_write2_b64 v235, v[74:75], v[92:93] offset1:15
	v_add_co_u32 v74, s0, s8, v52
	v_mul_u32_u24_sdwa v52, v163, v62 dst_sel:DWORD dst_unused:UNUSED_PAD src0_sel:BYTE_0 src1_sel:DWORD
	v_add_co_ci_u32_e64 v75, s0, s9, v53, s0
	ds_write2_b64 v235, v[90:91], v[94:95] offset0:30 offset1:45
	ds_write_b64 v235, v[96:97] offset:480
	s_waitcnt lgkmcnt(0)
	v_lshlrev_b32_e32 v76, 4, v52
	s_barrier
	buffer_gl0_inv
	s_clause 0x5
	global_load_dwordx4 v[52:55], v[74:75], off offset:1200
	global_load_dwordx4 v[58:61], v76, s[8:9] offset:1200
	global_load_dwordx4 v[64:67], v[74:75], off offset:1232
	global_load_dwordx4 v[78:81], v76, s[8:9] offset:1232
	global_load_dwordx4 v[86:89], v76, s[8:9] offset:1264
	global_load_dwordx4 v[82:85], v[74:75], off offset:1264
	v_mul_u32_u24_sdwa v62, v161, v62 dst_sel:DWORD dst_unused:UNUSED_PAD src0_sel:WORD_0 src1_sel:DWORD
	v_cmp_lt_u32_e64 s0, 0x4a, v176
	v_lshlrev_b32_e32 v134, 4, v62
	s_clause 0x6
	global_load_dwordx4 v[90:93], v76, s[8:9] offset:1152
	global_load_dwordx4 v[94:97], v134, s[8:9] offset:1152
	;; [unrolled: 1-line block ×6, first 2 shown]
	global_load_dwordx4 v[122:125], v[74:75], off offset:1216
	ds_read2_b64 v[70:73], v232 offset0:92 offset1:217
	s_clause 0x1
	global_load_dwordx4 v[126:129], v134, s[8:9] offset:1200
	global_load_dwordx4 v[146:149], v134, s[8:9] offset:1216
	ds_read2_b64 v[130:133], v229 offset0:116 offset1:241
	global_load_dwordx4 v[142:145], v76, s[8:9] offset:1216
	ds_read2_b64 v[154:157], v226 offset0:80 offset1:205
	global_load_dwordx4 v[150:153], v134, s[8:9] offset:1248
	s_waitcnt vmcnt(16) lgkmcnt(2)
	v_mul_f64 v[62:63], v[70:71], v[54:55]
	v_mul_f64 v[54:55], v[44:45], v[54:55]
	s_waitcnt vmcnt(15)
	v_mul_f64 v[98:99], v[72:73], v[60:61]
	v_fma_f64 v[68:69], v[44:45], v[52:53], -v[62:63]
	v_fma_f64 v[62:63], v[70:71], v[52:53], v[54:55]
	ds_read2_b64 v[52:55], v231 offset0:74 offset1:199
	v_mul_f64 v[44:45], v[46:47], v[60:61]
	v_fma_f64 v[46:47], v[46:47], v[58:59], -v[98:99]
	s_waitcnt vmcnt(14) lgkmcnt(0)
	v_mul_f64 v[70:71], v[52:53], v[66:67]
	v_mul_f64 v[66:67], v[40:41], v[66:67]
	v_fma_f64 v[44:45], v[72:73], v[58:59], v[44:45]
	s_waitcnt vmcnt(13)
	v_mul_f64 v[72:73], v[54:55], v[80:81]
	v_mul_f64 v[80:81], v[42:43], v[80:81]
	ds_read2_b64 v[58:61], v230 offset0:56 offset1:181
	v_fma_f64 v[70:71], v[40:41], v[64:65], -v[70:71]
	v_fma_f64 v[64:65], v[52:53], v[64:65], v[66:67]
	s_waitcnt vmcnt(11)
	v_mul_f64 v[66:67], v[36:37], v[84:85]
	v_fma_f64 v[42:43], v[42:43], v[78:79], -v[72:73]
	s_waitcnt lgkmcnt(0)
	v_mul_f64 v[52:53], v[58:59], v[84:85]
	v_fma_f64 v[40:41], v[54:55], v[78:79], v[80:81]
	v_mul_f64 v[72:73], v[60:61], v[88:89]
	v_mul_f64 v[78:79], v[38:39], v[88:89]
	v_fma_f64 v[54:55], v[58:59], v[82:83], v[66:67]
	s_waitcnt vmcnt(10)
	v_mul_f64 v[66:67], v[130:131], v[92:93]
	v_fma_f64 v[80:81], v[36:37], v[82:83], -v[52:53]
	v_mul_f64 v[82:83], v[32:33], v[92:93]
	v_fma_f64 v[52:53], v[38:39], v[86:87], -v[72:73]
	s_waitcnt vmcnt(9)
	v_mul_f64 v[72:73], v[132:133], v[96:97]
	v_fma_f64 v[36:37], v[60:61], v[86:87], v[78:79]
	ds_read2_b64 v[58:61], v198 offset0:107 offset1:232
	v_fma_f64 v[98:99], v[32:33], v[90:91], -v[66:67]
	v_mul_f64 v[32:33], v[34:35], v[96:97]
	v_fma_f64 v[38:39], v[130:131], v[90:91], v[82:83]
	ds_read2_b64 v[82:85], v228 offset0:98 offset1:223
	v_fma_f64 v[86:87], v[34:35], v[94:95], -v[72:73]
	s_waitcnt vmcnt(8) lgkmcnt(1)
	v_mul_f64 v[34:35], v[58:59], v[102:103]
	v_mul_f64 v[72:73], v[28:29], v[102:103]
	s_waitcnt vmcnt(7)
	v_mul_f64 v[78:79], v[60:61], v[106:107]
	v_fma_f64 v[32:33], v[132:133], v[94:95], v[32:33]
	s_clause 0x1
	global_load_dwordx4 v[92:95], v[74:75], off offset:1248
	global_load_dwordx4 v[130:133], v134, s[8:9] offset:1232
	v_fma_f64 v[66:67], v[28:29], v[100:101], -v[34:35]
	v_fma_f64 v[34:35], v[58:59], v[100:101], v[72:73]
	v_mul_f64 v[28:29], v[30:31], v[106:107]
	s_waitcnt vmcnt(8) lgkmcnt(0)
	v_mul_f64 v[58:59], v[82:83], v[111:112]
	v_mul_f64 v[72:73], v[24:25], v[111:112]
	v_fma_f64 v[30:31], v[30:31], v[104:105], -v[78:79]
	v_fma_f64 v[28:29], v[60:61], v[104:105], v[28:29]
	s_waitcnt vmcnt(7)
	v_mul_f64 v[60:61], v[84:85], v[115:116]
	v_fma_f64 v[100:101], v[24:25], v[109:110], -v[58:59]
	v_mul_f64 v[24:25], v[26:27], v[115:116]
	global_load_dwordx4 v[116:119], v76, s[8:9] offset:1248
	ds_read2_b64 v[102:105], v227 offset0:86 offset1:211
	v_fma_f64 v[58:59], v[82:83], v[109:110], v[72:73]
	v_fma_f64 v[88:89], v[26:27], v[113:114], -v[60:61]
	s_waitcnt vmcnt(7)
	v_mul_f64 v[60:61], v[22:23], v[124:125]
	s_waitcnt lgkmcnt(0)
	v_mul_f64 v[26:27], v[104:105], v[124:125]
	v_fma_f64 v[24:25], v[84:85], v[113:114], v[24:25]
	v_fma_f64 v[84:85], v[104:105], v[122:123], v[60:61]
	v_fma_f64 v[112:113], v[22:23], v[122:123], -v[26:27]
	global_load_dwordx4 v[122:125], v[74:75], off offset:1280
	s_waitcnt vmcnt(7)
	v_mul_f64 v[22:23], v[102:103], v[128:129]
	s_waitcnt vmcnt(5)
	v_mul_f64 v[26:27], v[16:17], v[144:145]
	v_fma_f64 v[60:61], v[20:21], v[126:127], -v[22:23]
	v_mul_f64 v[20:21], v[20:21], v[128:129]
	v_fma_f64 v[26:27], v[154:155], v[142:143], v[26:27]
	v_fma_f64 v[22:23], v[102:103], v[126:127], v[20:21]
	v_mul_f64 v[20:21], v[154:155], v[144:145]
	ds_read2_b64 v[126:129], v225 offset0:68 offset1:193
	v_fma_f64 v[104:105], v[16:17], v[142:143], -v[20:21]
	v_mul_f64 v[16:17], v[156:157], v[148:149]
	v_mul_f64 v[20:21], v[18:19], v[148:149]
	ds_read2_b64 v[142:145], v224 offset0:62 offset1:187
	v_fma_f64 v[90:91], v[18:19], v[146:147], -v[16:17]
	v_fma_f64 v[16:17], v[156:157], v[146:147], v[20:21]
	s_waitcnt vmcnt(3) lgkmcnt(1)
	v_mul_f64 v[18:19], v[128:129], v[94:95]
	v_mul_f64 v[72:73], v[14:15], v[94:95]
	global_load_dwordx4 v[94:97], v134, s[8:9] offset:1264
	s_waitcnt vmcnt(3)
	v_mul_f64 v[20:21], v[12:13], v[132:133]
	v_fma_f64 v[114:115], v[14:15], v[92:93], -v[18:19]
	v_mul_f64 v[14:15], v[126:127], v[132:133]
	v_fma_f64 v[18:19], v[128:129], v[92:93], v[72:73]
	v_fma_f64 v[20:21], v[126:127], v[130:131], v[20:21]
	s_waitcnt vmcnt(2) lgkmcnt(0)
	v_mul_f64 v[72:73], v[142:143], v[118:119]
	v_fma_f64 v[14:15], v[12:13], v[130:131], -v[14:15]
	s_clause 0x1
	global_load_dwordx4 v[126:129], v[74:75], off offset:1168
	global_load_dwordx4 v[130:133], v76, s[8:9] offset:1280
	v_mul_f64 v[12:13], v[8:9], v[118:119]
	ds_read2_b64 v[146:149], v223 offset0:50 offset1:175
	ds_read_b64 v[78:79], v213
	v_lshlrev_b32_e32 v76, 3, v108
	v_cndmask_b32_e64 v108, 0, 0x1770, s0
	s_mov_b32 s0, 0x9b97f4a8
	s_mov_b32 s1, 0x3fe9e377
	v_fma_f64 v[106:107], v[8:9], v[116:117], -v[72:73]
	v_mul_f64 v[8:9], v[144:145], v[152:153]
	v_mul_f64 v[72:73], v[10:11], v[152:153]
	global_load_dwordx4 v[152:155], v[74:75], off offset:1184
	v_add3_u32 v76, 0, v108, v76
	v_fma_f64 v[12:13], v[142:143], v[116:117], v[12:13]
	v_fma_f64 v[92:93], v[10:11], v[150:151], -v[8:9]
	s_waitcnt vmcnt(4) lgkmcnt(1)
	v_mul_f64 v[8:9], v[148:149], v[124:125]
	v_mul_f64 v[10:11], v[6:7], v[124:125]
	v_fma_f64 v[72:73], v[144:145], v[150:151], v[72:73]
	global_load_dwordx4 v[142:145], v[74:75], off offset:1152
	v_fma_f64 v[116:117], v[6:7], v[122:123], -v[8:9]
	v_fma_f64 v[8:9], v[148:149], v[122:123], v[10:11]
	global_load_dwordx4 v[148:151], v134, s[8:9] offset:1280
	v_add_f64 v[122:123], v[68:69], v[70:71]
	s_waitcnt vmcnt(5)
	v_mul_f64 v[6:7], v[146:147], v[96:97]
	v_fma_f64 v[6:7], v[4:5], v[94:95], -v[6:7]
	v_mul_f64 v[4:5], v[4:5], v[96:97]
	s_waitcnt vmcnt(4)
	v_mul_f64 v[82:83], v[140:141], v[128:129]
	s_waitcnt vmcnt(3)
	v_mul_f64 v[109:110], v[0:1], v[132:133]
	v_fma_f64 v[74:75], v[146:147], v[94:95], v[4:5]
	s_waitcnt lgkmcnt(0)
	v_mul_f64 v[4:5], v[78:79], v[128:129]
	ds_read2_b64 v[94:97], v222 offset0:44 offset1:169
	s_waitcnt lgkmcnt(0)
	v_mul_f64 v[102:103], v[94:95], v[132:133]
	v_fma_f64 v[10:11], v[140:141], v[126:127], -v[4:5]
	v_fma_f64 v[4:5], v[78:79], v[126:127], v[82:83]
	v_fma_f64 v[78:79], v[94:95], v[130:131], v[109:110]
	s_waitcnt vmcnt(2)
	v_mul_f64 v[94:95], v[138:139], v[154:155]
	ds_read_b64 v[82:83], v220
	ds_read_b64 v[118:119], v216
	s_waitcnt vmcnt(1)
	v_mul_f64 v[109:110], v[136:137], v[144:145]
	v_fma_f64 v[124:125], v[0:1], v[130:131], -v[102:103]
	v_add_f64 v[130:131], v[8:9], -v[18:19]
	s_waitcnt lgkmcnt(1)
	v_mul_f64 v[0:1], v[82:83], v[154:155]
	s_waitcnt lgkmcnt(0)
	v_mul_f64 v[102:103], v[118:119], v[144:145]
	v_fma_f64 v[94:95], v[82:83], v[152:153], v[94:95]
	v_add_f64 v[132:133], v[56:57], v[10:11]
	v_fma_f64 v[144:145], v[122:123], -0.5, v[56:57]
	s_waitcnt vmcnt(0)
	v_mul_f64 v[82:83], v[2:3], v[150:151]
	v_fma_f64 v[156:157], v[138:139], v[152:153], -v[0:1]
	v_mul_f64 v[0:1], v[96:97], v[150:151]
	v_add_f64 v[128:129], v[94:95], -v[84:85]
	v_fma_f64 v[158:159], v[136:137], v[142:143], -v[102:103]
	v_add_f64 v[154:155], v[94:95], -v[8:9]
	v_add_f64 v[138:139], v[62:63], -v[64:65]
	;; [unrolled: 1-line block ×3, first 2 shown]
	v_fma_f64 v[82:83], v[96:97], v[148:149], v[82:83]
	v_fma_f64 v[96:97], v[118:119], v[142:143], v[109:110]
	v_add_f64 v[118:119], v[116:117], -v[114:115]
	v_add_f64 v[109:110], v[156:157], -v[112:113]
	v_fma_f64 v[102:103], v[2:3], v[148:149], -v[0:1]
	v_add_f64 v[0:1], v[10:11], -v[68:69]
	v_add_f64 v[2:3], v[80:81], -v[70:71]
	v_add_f64 v[128:129], v[128:129], v[130:131]
	v_add_f64 v[130:131], v[84:85], v[18:19]
	;; [unrolled: 1-line block ×3, first 2 shown]
	v_add_f64 v[146:147], v[156:157], -v[116:117]
	v_add_f64 v[148:149], v[4:5], -v[54:55]
	v_add_f64 v[122:123], v[109:110], v[118:119]
	v_add_f64 v[118:119], v[112:113], v[114:115]
	;; [unrolled: 1-line block ×4, first 2 shown]
	v_fma_f64 v[142:143], v[130:131], -0.5, v[96:97]
	v_add_f64 v[109:110], v[134:135], v[112:113]
	v_add_f64 v[130:131], v[112:113], -v[114:115]
	v_fma_f64 v[2:3], v[148:149], s[10:11], v[144:145]
	v_add_f64 v[112:113], v[112:113], -v[156:157]
	v_fma_f64 v[144:145], v[148:149], s[16:17], v[144:145]
	v_fma_f64 v[152:153], v[118:119], -0.5, v[158:159]
	v_add_f64 v[132:133], v[0:1], v[70:71]
	v_fma_f64 v[0:1], v[146:147], s[16:17], v[142:143]
	v_add_f64 v[108:109], v[109:110], v[114:115]
	v_add_f64 v[114:115], v[114:115], -v[116:117]
	v_fma_f64 v[2:3], v[138:139], s[6:7], v[2:3]
	v_fma_f64 v[142:143], v[146:147], s[10:11], v[142:143]
	;; [unrolled: 1-line block ×4, first 2 shown]
	v_add_f64 v[132:133], v[132:133], v[80:81]
	v_fma_f64 v[0:1], v[130:131], s[14:15], v[0:1]
	v_add_f64 v[136:137], v[108:109], v[116:117]
	v_fma_f64 v[134:135], v[126:127], s[4:5], v[2:3]
	v_fma_f64 v[110:111], v[150:151], s[6:7], v[110:111]
	;; [unrolled: 1-line block ×3, first 2 shown]
	v_add_f64 v[220:221], v[132:133], v[136:137]
	v_fma_f64 v[2:3], v[122:123], s[4:5], v[110:111]
	v_mul_f64 v[108:109], v[0:1], s[6:7]
	v_fma_f64 v[140:141], v[2:3], s[0:1], v[108:109]
	ds_read_b64 v[110:111], v214
	ds_read_b64 v[108:109], v215
	;; [unrolled: 1-line block ×3, first 2 shown]
	s_waitcnt lgkmcnt(0)
	s_barrier
	buffer_gl0_inv
	v_mul_f64 v[2:3], v[2:3], s[14:15]
	v_add_f64 v[222:223], v[134:135], v[140:141]
	ds_write2_b64 v76, v[220:221], v[222:223] offset1:75
	v_add_f64 v[220:221], v[10:11], v[80:81]
	v_add_f64 v[222:223], v[70:71], -v[80:81]
	v_fma_f64 v[56:57], v[220:221], -0.5, v[56:57]
	v_add_f64 v[220:221], v[68:69], -v[10:11]
	v_add_f64 v[68:69], v[68:69], -v[70:71]
	v_add_f64 v[70:71], v[118:119], v[4:5]
	v_add_f64 v[10:11], v[10:11], -v[80:81]
	v_add_f64 v[80:81], v[62:63], v[64:65]
	v_add_f64 v[220:221], v[220:221], v[222:223]
	;; [unrolled: 1-line block ×3, first 2 shown]
	v_fma_f64 v[116:117], v[138:139], s[16:17], v[56:57]
	v_fma_f64 v[56:57], v[138:139], s[10:11], v[56:57]
	;; [unrolled: 1-line block ×3, first 2 shown]
	v_add_f64 v[70:71], v[70:71], v[62:63]
	v_fma_f64 v[80:81], v[80:81], -0.5, v[118:119]
	v_fma_f64 v[158:159], v[222:223], -0.5, v[158:159]
	v_fma_f64 v[116:117], v[148:149], s[6:7], v[116:117]
	v_fma_f64 v[56:57], v[148:149], s[14:15], v[56:57]
	;; [unrolled: 1-line block ×3, first 2 shown]
	v_add_f64 v[148:149], v[44:45], -v[40:41]
	v_fma_f64 v[156:157], v[220:221], s[4:5], v[116:117]
	v_fma_f64 v[220:221], v[220:221], s[4:5], v[56:57]
	v_add_f64 v[56:57], v[112:113], v[114:115]
	v_fma_f64 v[112:113], v[150:151], s[16:17], v[158:159]
	v_fma_f64 v[114:115], v[150:151], s[10:11], v[158:159]
	v_add_f64 v[116:117], v[18:19], -v[8:9]
	v_fma_f64 v[112:113], v[154:155], s[6:7], v[112:113]
	v_fma_f64 v[114:115], v[154:155], s[14:15], v[114:115]
	;; [unrolled: 1-line block ×4, first 2 shown]
	v_add_f64 v[114:115], v[84:85], -v[94:95]
	v_add_f64 v[116:117], v[114:115], v[116:117]
	v_add_f64 v[114:115], v[94:95], v[8:9]
	v_fma_f64 v[114:115], v[114:115], -0.5, v[96:97]
	v_fma_f64 v[158:159], v[130:131], s[10:11], v[114:115]
	v_fma_f64 v[114:115], v[130:131], s[16:17], v[114:115]
	;; [unrolled: 1-line block ×7, first 2 shown]
	v_add_f64 v[128:129], v[132:133], -v[136:137]
	v_add_f64 v[130:131], v[134:135], -v[140:141]
	v_fma_f64 v[114:115], v[116:117], s[4:5], v[158:159]
	v_fma_f64 v[116:117], v[116:117], s[4:5], v[222:223]
	;; [unrolled: 1-line block ×3, first 2 shown]
	v_mul_f64 v[222:223], v[56:57], s[4:5]
	v_add_f64 v[146:147], v[34:35], -v[36:37]
	v_mul_f64 v[158:159], v[114:115], s[10:11]
	v_mul_f64 v[136:137], v[122:123], s[0:1]
	v_fma_f64 v[222:223], v[116:117], s[10:11], -v[222:223]
	v_fma_f64 v[158:159], v[112:113], s[4:5], v[158:159]
	v_fma_f64 v[136:137], v[126:127], s[6:7], -v[136:137]
	v_add_f64 v[134:135], v[220:221], -v[222:223]
	v_add_f64 v[226:227], v[220:221], v[222:223]
	v_add_f64 v[222:223], v[26:27], -v[12:13]
	v_add_f64 v[132:133], v[156:157], -v[158:159]
	v_add_f64 v[224:225], v[156:157], v[158:159]
	v_add_f64 v[140:141], v[138:139], v[136:137]
	v_add_f64 v[142:143], v[138:139], -v[136:137]
	v_add_nc_u32_e32 v136, 0x800, v76
	v_add_nc_u32_e32 v137, 0xc00, v76
	;; [unrolled: 1-line block ×3, first 2 shown]
	v_add_f64 v[156:157], v[100:101], -v[124:125]
	v_add_f64 v[158:159], v[104:105], -v[106:107]
	ds_write2_b64 v137, v[130:131], v[132:133] offset0:66 offset1:141
	v_add_f64 v[130:131], v[52:53], -v[42:43]
	ds_write2_b64 v136, v[140:141], v[128:129] offset0:44 offset1:119
	;; [unrolled: 2-line block ×3, first 2 shown]
	v_add_f64 v[132:133], v[100:101], -v[104:105]
	v_add_f64 v[134:135], v[124:125], -v[106:107]
	ds_write2_b64 v76, v[224:225], v[226:227] offset0:150 offset1:225
	v_add_f64 v[140:141], v[128:129], v[130:131]
	v_add_f64 v[128:129], v[58:59], -v[26:27]
	v_add_f64 v[130:131], v[78:79], -v[12:13]
	v_add_f64 v[132:133], v[132:133], v[134:135]
	v_add_f64 v[134:135], v[50:51], v[66:67]
	;; [unrolled: 1-line block ×3, first 2 shown]
	v_mul_u32_u24_sdwa v128, v162, v166 dst_sel:DWORD dst_unused:UNUSED_PAD src0_sel:WORD_0 src1_sel:DWORD
	v_lshlrev_b32_sdwa v129, v219, v163 dst_sel:DWORD dst_unused:UNUSED_PAD src0_sel:DWORD src1_sel:BYTE_0
	v_add_f64 v[130:131], v[46:47], v[42:43]
	v_add_f64 v[162:163], v[58:59], -v[78:79]
	v_add3_u32 v139, 0, v128, v129
	v_add_f64 v[128:129], v[134:135], v[46:47]
	v_fma_f64 v[144:145], v[130:131], -0.5, v[50:51]
	v_add_f64 v[134:135], v[128:129], v[42:43]
	v_add_f64 v[128:129], v[98:99], v[100:101]
	v_fma_f64 v[130:131], v[146:147], s[10:11], v[144:145]
	v_add_f64 v[134:135], v[134:135], v[52:53]
	v_add_f64 v[128:129], v[128:129], v[104:105]
	v_fma_f64 v[130:131], v[148:149], s[6:7], v[130:131]
	;; [unrolled: 3-line block ×3, first 2 shown]
	v_add_f64 v[150:151], v[150:151], v[124:125]
	v_fma_f64 v[152:153], v[128:129], -0.5, v[98:99]
	v_add_f64 v[128:129], v[26:27], v[12:13]
	v_add_f64 v[226:227], v[134:135], v[150:151]
	v_fma_f64 v[220:221], v[162:163], s[10:11], v[152:153]
	v_fma_f64 v[154:155], v[128:129], -0.5, v[38:39]
	v_add_f64 v[134:135], v[134:135], -v[150:151]
	v_fma_f64 v[220:221], v[222:223], s[6:7], v[220:221]
	v_fma_f64 v[128:129], v[156:157], s[16:17], v[154:155]
	;; [unrolled: 1-line block ×5, first 2 shown]
	v_mul_f64 v[220:221], v[128:129], s[6:7]
	v_fma_f64 v[220:221], v[130:131], s[0:1], v[220:221]
	v_mul_f64 v[130:131], v[130:131], s[14:15]
	v_add_f64 v[228:229], v[224:225], v[220:221]
	ds_write2_b64 v139, v[226:227], v[228:229] offset1:75
	v_add_f64 v[226:227], v[66:67], v[52:53]
	v_add_f64 v[228:229], v[42:43], -v[52:53]
	v_add_f64 v[42:43], v[46:47], -v[42:43]
	v_fma_f64 v[50:51], v[226:227], -0.5, v[50:51]
	v_add_f64 v[226:227], v[46:47], -v[66:67]
	v_add_f64 v[226:227], v[226:227], v[228:229]
	v_add_f64 v[228:229], v[100:101], v[124:125]
	v_add_f64 v[100:101], v[104:105], -v[100:101]
	v_add_f64 v[104:105], v[106:107], -v[124:125]
	v_fma_f64 v[106:107], v[148:149], s[16:17], v[50:51]
	v_fma_f64 v[50:51], v[148:149], s[10:11], v[50:51]
	v_fma_f64 v[98:99], v[228:229], -0.5, v[98:99]
	v_fma_f64 v[106:107], v[146:147], s[6:7], v[106:107]
	v_fma_f64 v[50:51], v[146:147], s[14:15], v[50:51]
	v_fma_f64 v[228:229], v[226:227], s[4:5], v[106:107]
	v_fma_f64 v[226:227], v[226:227], s[4:5], v[50:51]
	v_add_f64 v[50:51], v[100:101], v[104:105]
	v_fma_f64 v[100:101], v[222:223], s[16:17], v[98:99]
	v_fma_f64 v[98:99], v[222:223], s[10:11], v[98:99]
	;; [unrolled: 1-line block ×6, first 2 shown]
	v_add_f64 v[100:101], v[26:27], -v[58:59]
	v_add_f64 v[104:105], v[12:13], -v[78:79]
	v_add_f64 v[104:105], v[100:101], v[104:105]
	v_add_f64 v[100:101], v[58:59], v[78:79]
	v_fma_f64 v[100:101], v[100:101], -0.5, v[38:39]
	v_fma_f64 v[106:107], v[158:159], s[10:11], v[100:101]
	v_fma_f64 v[100:101], v[158:159], s[16:17], v[100:101]
	;; [unrolled: 1-line block ×6, first 2 shown]
	v_mul_f64 v[104:105], v[100:101], s[10:11]
	v_fma_f64 v[230:231], v[98:99], s[4:5], v[104:105]
	v_mul_f64 v[104:105], v[50:51], s[4:5]
	v_mul_f64 v[98:99], v[98:99], s[16:17]
	v_fma_f64 v[232:233], v[106:107], s[10:11], -v[104:105]
	v_add_f64 v[104:105], v[228:229], v[230:231]
	v_mul_f64 v[106:107], v[106:107], s[4:5]
	v_fma_f64 v[98:99], v[100:101], s[4:5], v[98:99]
	v_add_f64 v[124:125], v[226:227], v[232:233]
	ds_write2_b64 v139, v[104:105], v[124:125] offset0:150 offset1:225
	v_fma_f64 v[104:105], v[162:163], s[16:17], v[152:153]
	v_fma_f64 v[124:125], v[146:147], s[16:17], v[144:145]
	;; [unrolled: 1-line block ×3, first 2 shown]
	v_add_f64 v[152:153], v[28:29], -v[74:75]
	v_add_f64 v[156:157], v[22:23], -v[20:21]
	v_fma_f64 v[104:105], v[222:223], s[14:15], v[104:105]
	v_fma_f64 v[124:125], v[148:149], s[14:15], v[124:125]
	;; [unrolled: 1-line block ×6, first 2 shown]
	v_mul_f64 v[140:141], v[104:105], s[0:1]
	v_fma_f64 v[142:143], v[124:125], s[6:7], -v[140:141]
	v_add_nc_u32_e32 v140, 0x800, v139
	v_add_nc_u32_e32 v141, 0xc00, v139
	v_add_f64 v[144:145], v[132:133], v[142:143]
	v_add_f64 v[132:133], v[132:133], -v[142:143]
	v_add_nc_u32_e32 v142, 0x1000, v139
	ds_write2_b64 v140, v[144:145], v[134:135] offset0:44 offset1:119
	v_add_f64 v[134:135], v[224:225], -v[220:221]
	v_add_f64 v[144:145], v[228:229], -v[230:231]
	v_add_f64 v[221:222], v[90:91], -v[92:93]
	v_add_f64 v[223:224], v[24:25], -v[82:83]
	ds_write2_b64 v141, v[134:135], v[144:145] offset0:66 offset1:141
	v_add_f64 v[134:135], v[226:227], -v[232:233]
	v_add_f64 v[227:228], v[16:17], -v[72:73]
	ds_write2_b64 v142, v[134:135], v[132:133] offset0:88 offset1:163
	v_add_f64 v[132:133], v[30:31], -v[60:61]
	v_add_f64 v[134:135], v[6:7], -v[14:15]
	v_add_f64 v[144:145], v[132:133], v[134:135]
	v_add_f64 v[132:133], v[88:89], -v[90:91]
	v_add_f64 v[134:135], v[102:103], -v[92:93]
	v_add_f64 v[146:147], v[132:133], v[134:135]
	;; [unrolled: 3-line block ×3, first 2 shown]
	v_mul_u32_u24_sdwa v132, v160, v166 dst_sel:DWORD dst_unused:UNUSED_PAD src0_sel:WORD_0 src1_sel:DWORD
	v_lshlrev_b32_sdwa v133, v219, v161 dst_sel:DWORD dst_unused:UNUSED_PAD src0_sel:DWORD src1_sel:WORD_0
	v_add_f64 v[219:220], v[88:89], -v[102:103]
	v_add3_u32 v143, 0, v132, v133
	v_add_f64 v[132:133], v[48:49], v[30:31]
	v_add_f64 v[132:133], v[132:133], v[60:61]
	;; [unrolled: 1-line block ×5, first 2 shown]
	v_fma_f64 v[150:151], v[132:133], -0.5, v[48:49]
	v_add_f64 v[132:133], v[86:87], v[88:89]
	v_fma_f64 v[154:155], v[152:153], s[10:11], v[150:151]
	v_add_f64 v[132:133], v[132:133], v[90:91]
	v_fma_f64 v[150:151], v[152:153], s[16:17], v[150:151]
	v_fma_f64 v[154:155], v[156:157], s[6:7], v[154:155]
	v_add_f64 v[158:159], v[132:133], v[92:93]
	v_add_f64 v[132:133], v[90:91], v[92:93]
	v_fma_f64 v[150:151], v[156:157], s[14:15], v[150:151]
	v_fma_f64 v[154:155], v[144:145], s[4:5], v[154:155]
	v_add_f64 v[158:159], v[158:159], v[102:103]
	v_fma_f64 v[160:161], v[132:133], -0.5, v[86:87]
	v_add_f64 v[132:133], v[16:17], v[72:73]
	v_add_f64 v[231:232], v[229:230], v[158:159]
	v_fma_f64 v[225:226], v[223:224], s[10:11], v[160:161]
	v_fma_f64 v[162:163], v[132:133], -0.5, v[32:33]
	v_fma_f64 v[225:226], v[227:228], s[6:7], v[225:226]
	v_fma_f64 v[132:133], v[219:220], s[16:17], v[162:163]
	;; [unrolled: 1-line block ×5, first 2 shown]
	v_mul_f64 v[225:226], v[132:133], s[6:7]
	v_fma_f64 v[225:226], v[134:135], s[0:1], v[225:226]
	v_add_f64 v[233:234], v[154:155], v[225:226]
	ds_write2_b64 v143, v[231:232], v[233:234] offset1:75
	v_add_f64 v[231:232], v[30:31], v[6:7]
	v_add_f64 v[233:234], v[14:15], -v[6:7]
	v_fma_f64 v[48:49], v[231:232], -0.5, v[48:49]
	v_add_f64 v[231:232], v[60:61], -v[30:31]
	v_add_f64 v[30:31], v[30:31], -v[6:7]
	;; [unrolled: 1-line block ×3, first 2 shown]
	v_add_f64 v[14:15], v[108:109], v[28:29]
	v_add_f64 v[231:232], v[231:232], v[233:234]
	;; [unrolled: 1-line block ×3, first 2 shown]
	v_add_f64 v[88:89], v[90:91], -v[88:89]
	v_add_f64 v[90:91], v[92:93], -v[102:103]
	v_fma_f64 v[92:93], v[156:157], s[16:17], v[48:49]
	v_fma_f64 v[48:49], v[156:157], s[10:11], v[48:49]
	v_add_nc_u32_e32 v156, 0x800, v143
	v_fma_f64 v[86:87], v[233:234], -0.5, v[86:87]
	v_fma_f64 v[92:93], v[152:153], s[6:7], v[92:93]
	v_fma_f64 v[48:49], v[152:153], s[14:15], v[48:49]
	;; [unrolled: 1-line block ×5, first 2 shown]
	v_add_f64 v[48:49], v[88:89], v[90:91]
	v_fma_f64 v[88:89], v[227:228], s[16:17], v[86:87]
	v_fma_f64 v[86:87], v[227:228], s[10:11], v[86:87]
	;; [unrolled: 1-line block ×7, first 2 shown]
	v_add_f64 v[86:87], v[16:17], -v[24:25]
	v_add_f64 v[88:89], v[72:73], -v[82:83]
	v_add_f64 v[86:87], v[86:87], v[88:89]
	v_add_f64 v[88:89], v[24:25], v[82:83]
	;; [unrolled: 1-line block ×3, first 2 shown]
	v_fma_f64 v[88:89], v[88:89], -0.5, v[32:33]
	v_add_f64 v[24:25], v[24:25], v[16:17]
	v_fma_f64 v[90:91], v[221:222], s[10:11], v[88:89]
	v_fma_f64 v[88:89], v[221:222], s[16:17], v[88:89]
	v_add_f64 v[72:73], v[24:25], v[72:73]
	v_fma_f64 v[90:91], v[219:220], s[14:15], v[90:91]
	v_fma_f64 v[88:89], v[219:220], s[6:7], v[88:89]
	;; [unrolled: 3-line block ×3, first 2 shown]
	v_mul_f64 v[88:89], v[48:49], s[4:5]
	v_mul_f64 v[86:87], v[233:234], s[10:11]
	v_fma_f64 v[88:89], v[235:236], s[10:11], -v[88:89]
	v_fma_f64 v[86:87], v[102:103], s[4:5], v[86:87]
	v_add_f64 v[237:238], v[231:232], v[88:89]
	v_add_f64 v[90:91], v[92:93], v[86:87]
	v_add_f64 v[86:87], v[92:93], -v[86:87]
	ds_write2_b64 v143, v[90:91], v[237:238] offset0:150 offset1:225
	v_fma_f64 v[90:91], v[223:224], s[16:17], v[160:161]
	v_fma_f64 v[90:91], v[227:228], s[14:15], v[90:91]
	;; [unrolled: 1-line block ×5, first 2 shown]
	v_add_f64 v[148:149], v[229:230], -v[158:159]
	v_mul_f64 v[150:151], v[146:147], s[0:1]
	v_fma_f64 v[150:151], v[144:145], s[6:7], -v[150:151]
	v_add_f64 v[152:153], v[90:91], v[150:151]
	ds_write2_b64 v156, v[152:153], v[148:149] offset0:44 offset1:119
	v_add_f64 v[148:149], v[154:155], -v[225:226]
	v_add_nc_u32_e32 v152, 0xc00, v143
	v_add_nc_u32_e32 v153, 0x1000, v143
	ds_write2_b64 v152, v[148:149], v[86:87] offset0:66 offset1:141
	v_add_f64 v[86:87], v[231:232], -v[88:89]
	v_add_f64 v[88:89], v[90:91], -v[150:151]
	v_fma_f64 v[148:149], v[0:1], s[0:1], v[2:3]
	v_fma_f64 v[2:3], v[10:11], s[10:11], v[80:81]
	ds_write2_b64 v153, v[86:87], v[88:89] offset0:88 offset1:163
	v_add_f64 v[86:87], v[96:97], v[94:95]
	v_add_f64 v[88:89], v[54:55], -v[64:65]
	s_waitcnt lgkmcnt(0)
	s_barrier
	buffer_gl0_inv
	v_add_f64 v[84:85], v[86:87], v[84:85]
	v_add_f64 v[86:87], v[4:5], v[54:55]
	;; [unrolled: 1-line block ×3, first 2 shown]
	v_fma_f64 v[86:87], v[86:87], -0.5, v[118:119]
	v_add_f64 v[84:85], v[4:5], -v[62:63]
	v_add_f64 v[4:5], v[62:63], -v[4:5]
	;; [unrolled: 1-line block ×3, first 2 shown]
	v_add_f64 v[64:65], v[70:71], v[64:65]
	v_add_f64 v[18:19], v[18:19], v[8:9]
	v_fma_f64 v[70:71], v[68:69], s[10:11], v[86:87]
	v_fma_f64 v[86:87], v[68:69], s[16:17], v[86:87]
	v_add_f64 v[8:9], v[44:45], v[40:41]
	v_add_f64 v[4:5], v[4:5], v[62:63]
	;; [unrolled: 1-line block ×4, first 2 shown]
	v_fma_f64 v[84:85], v[10:11], s[16:17], v[80:81]
	v_add_f64 v[80:81], v[22:23], v[20:21]
	v_add_f64 v[54:55], v[64:65], v[54:55]
	v_fma_f64 v[70:71], v[10:11], s[14:15], v[70:71]
	v_fma_f64 v[0:1], v[10:11], s[6:7], v[86:87]
	v_add_f64 v[10:11], v[66:67], -v[52:53]
	v_fma_f64 v[8:9], v[8:9], -0.5, v[110:111]
	v_add_f64 v[52:53], v[110:111], v[34:35]
	v_mul_f64 v[66:67], v[112:113], s[16:17]
	v_fma_f64 v[46:47], v[62:63], -0.5, v[110:111]
	v_fma_f64 v[84:85], v[68:69], s[14:15], v[84:85]
	v_mul_f64 v[110:111], v[116:117], s[4:5]
	v_fma_f64 v[6:7], v[80:81], -0.5, v[108:109]
	v_add_f64 v[150:151], v[54:55], v[18:19]
	v_add_f64 v[54:55], v[54:55], -v[18:19]
	v_fma_f64 v[62:63], v[4:5], s[4:5], v[70:71]
	v_add_f64 v[70:71], v[28:29], v[74:75]
	v_fma_f64 v[112:113], v[4:5], s[4:5], v[0:1]
	v_add_f64 v[4:5], v[38:39], v[58:59]
	v_fma_f64 v[38:39], v[68:69], s[6:7], v[2:3]
	v_add_f64 v[58:59], v[34:35], -v[44:45]
	v_add_f64 v[68:69], v[36:37], -v[40:41]
	v_fma_f64 v[116:117], v[10:11], s[16:17], v[8:9]
	v_add_f64 v[52:53], v[52:53], v[44:45]
	v_fma_f64 v[66:67], v[114:115], s[4:5], v[66:67]
	v_add_f64 v[34:35], v[44:45], -v[34:35]
	v_add_f64 v[114:115], v[40:41], -v[36:37]
	v_fma_f64 v[64:65], v[118:119], s[4:5], v[84:85]
	v_fma_f64 v[8:9], v[10:11], s[10:11], v[8:9]
	;; [unrolled: 1-line block ×4, first 2 shown]
	v_fma_f64 v[56:57], v[56:57], s[16:17], -v[110:111]
	v_fma_f64 v[110:111], v[30:31], s[16:17], v[6:7]
	ds_read_b64 v[84:85], v214
	ds_read_b64 v[86:87], v215
	;; [unrolled: 1-line block ×7, first 2 shown]
	ds_read_b64 v[96:97], v193 offset:29000
	ds_read2_b64 v[0:3], v202 offset0:95 offset1:220
	ds_read2_b64 v[16:19], v203 offset0:89 offset1:214
	v_fma_f64 v[32:33], v[70:71], -0.5, v[108:109]
	v_add_f64 v[108:109], v[74:75], -v[20:21]
	v_add_f64 v[26:27], v[4:5], v[26:27]
	v_fma_f64 v[38:39], v[118:119], s[4:5], v[38:39]
	v_mul_f64 v[70:71], v[126:127], s[0:1]
	v_add_f64 v[58:59], v[58:59], v[68:69]
	v_fma_f64 v[68:69], v[42:43], s[14:15], v[116:117]
	v_add_f64 v[40:41], v[52:53], v[40:41]
	v_add_f64 v[52:53], v[28:29], -v[22:23]
	v_fma_f64 v[116:117], v[30:31], s[10:11], v[6:7]
	v_add_f64 v[34:35], v[34:35], v[114:115]
	v_add_f64 v[114:115], v[14:15], v[22:23]
	v_add_f64 v[22:23], v[22:23], -v[28:29]
	v_add_f64 v[28:29], v[20:21], -v[74:75]
	v_fma_f64 v[42:43], v[42:43], s[6:7], v[8:9]
	v_fma_f64 v[44:45], v[10:11], s[14:15], v[44:45]
	;; [unrolled: 1-line block ×3, first 2 shown]
	ds_read2_b64 v[4:7], v201 offset0:77 offset1:202
	ds_read2_b64 v[8:11], v199 offset0:59 offset1:184
	v_fma_f64 v[118:119], v[60:61], s[10:11], v[32:33]
	v_fma_f64 v[32:33], v[60:61], s[16:17], v[32:33]
	v_add_f64 v[126:127], v[26:27], v[12:13]
	ds_read2_b64 v[12:15], v198 offset0:107 offset1:232
	v_fma_f64 v[70:71], v[122:123], s[14:15], -v[70:71]
	v_add_f64 v[122:123], v[64:65], v[148:149]
	v_fma_f64 v[68:69], v[58:59], s[4:5], v[68:69]
	v_add_f64 v[36:37], v[40:41], v[36:37]
	v_add_f64 v[52:53], v[52:53], v[108:109]
	v_fma_f64 v[108:109], v[60:61], s[14:15], v[110:111]
	v_fma_f64 v[60:61], v[60:61], s[6:7], v[116:117]
	v_add_f64 v[110:111], v[114:115], v[20:21]
	v_mul_f64 v[114:115], v[124:125], s[0:1]
	v_add_f64 v[28:29], v[22:23], v[28:29]
	v_mul_f64 v[124:125], v[144:145], s[0:1]
	v_fma_f64 v[42:43], v[58:59], s[4:5], v[42:43]
	v_fma_f64 v[58:59], v[128:129], s[0:1], v[130:131]
	;; [unrolled: 1-line block ×4, first 2 shown]
	v_fma_f64 v[46:47], v[50:51], s[16:17], -v[106:107]
	ds_read2_b64 v[20:23], v195 offset0:71 offset1:196
	ds_read2_b64 v[24:27], v196 offset0:53 offset1:178
	v_fma_f64 v[116:117], v[30:31], s[14:15], v[118:119]
	v_mul_f64 v[118:119], v[134:135], s[14:15]
	v_fma_f64 v[30:31], v[30:31], s[6:7], v[32:33]
	v_mul_f64 v[32:33], v[102:103], s[16:17]
	v_mul_f64 v[102:103], v[235:236], s[4:5]
	v_add_f64 v[40:41], v[126:127], v[78:79]
	v_add_f64 v[134:135], v[62:63], v[66:67]
	;; [unrolled: 1-line block ×3, first 2 shown]
	v_add_f64 v[62:63], v[62:63], -v[66:67]
	v_fma_f64 v[100:101], v[52:53], s[4:5], v[108:109]
	v_fma_f64 v[52:53], v[52:53], s[4:5], v[60:61]
	v_add_f64 v[74:75], v[110:111], v[74:75]
	v_fma_f64 v[50:51], v[104:105], s[14:15], -v[114:115]
	v_add_f64 v[56:57], v[112:113], -v[56:57]
	v_add_f64 v[66:67], v[38:39], v[70:71]
	v_add_f64 v[70:71], v[38:39], -v[70:71]
	v_add_f64 v[106:107], v[68:69], v[58:59]
	;; [unrolled: 2-line block ×4, first 2 shown]
	v_add_f64 v[46:47], v[34:35], -v[46:47]
	v_fma_f64 v[82:83], v[28:29], s[4:5], v[116:117]
	v_fma_f64 v[60:61], v[132:133], s[0:1], v[118:119]
	;; [unrolled: 1-line block ×4, first 2 shown]
	v_fma_f64 v[30:31], v[48:49], s[16:17], -v[102:103]
	v_fma_f64 v[48:49], v[146:147], s[14:15], -v[124:125]
	v_add_f64 v[102:103], v[36:37], v[40:41]
	v_add_f64 v[104:105], v[36:37], -v[40:41]
	v_add_f64 v[64:65], v[64:65], -v[148:149]
	v_add_f64 v[110:111], v[74:75], v[72:73]
	v_add_f64 v[108:109], v[42:43], v[50:51]
	v_add_f64 v[50:51], v[42:43], -v[50:51]
	v_add_f64 v[72:73], v[74:75], -v[72:73]
	v_add_f64 v[74:75], v[100:101], v[60:61]
	v_add_f64 v[60:61], v[100:101], -v[60:61]
	v_add_f64 v[100:101], v[82:83], v[32:33]
	v_add_f64 v[82:83], v[82:83], -v[32:33]
	v_add_f64 v[112:113], v[28:29], v[30:31]
	v_add_f64 v[116:117], v[28:29], -v[30:31]
	ds_read2_b64 v[36:39], v206 offset0:101 offset1:226
	ds_read2_b64 v[28:31], v207 offset0:83 offset1:208
	;; [unrolled: 1-line block ×4, first 2 shown]
	v_add_f64 v[114:115], v[52:53], v[48:49]
	v_add_f64 v[48:49], v[52:53], -v[48:49]
	s_waitcnt lgkmcnt(0)
	s_barrier
	buffer_gl0_inv
	ds_write2_b64 v76, v[150:151], v[122:123] offset1:75
	ds_write2_b64 v76, v[134:135], v[78:79] offset0:150 offset1:225
	ds_write2_b64 v136, v[66:67], v[54:55] offset0:44 offset1:119
	ds_write2_b64 v137, v[64:65], v[62:63] offset0:66 offset1:141
	ds_write2_b64 v138, v[56:57], v[70:71] offset0:88 offset1:163
	ds_write2_b64 v139, v[102:103], v[106:107] offset1:75
	ds_write2_b64 v139, v[68:69], v[98:99] offset0:150 offset1:225
	ds_write2_b64 v140, v[108:109], v[104:105] offset0:44 offset1:119
	ds_write2_b64 v141, v[58:59], v[44:45] offset0:66 offset1:141
	ds_write2_b64 v142, v[46:47], v[50:51] offset0:88 offset1:163
	;; [unrolled: 5-line block ×3, first 2 shown]
	s_waitcnt lgkmcnt(0)
	s_barrier
	buffer_gl0_inv
	s_and_saveexec_b32 s0, vcc_lo
	s_cbranch_execz .LBB0_15
; %bb.14:
	v_lshlrev_b32_e32 v76, 2, v212
	v_mov_b32_e32 v168, v172
	v_sub_nc_u32_e32 v172, 0, v209
	v_sub_nc_u32_e32 v166, 0, v197
	v_lshlrev_b64 v[44:45], 4, v[76:77]
	v_lshlrev_b32_e32 v76, 2, v194
	v_add_nc_u32_e32 v172, v190, v172
	v_add_nc_u32_e32 v166, v191, v166
	v_add_co_u32 v46, vcc_lo, s8, v44
	v_add_co_ci_u32_e32 v47, vcc_lo, s9, v45, vcc_lo
	v_lshlrev_b64 v[44:45], 4, v[76:77]
	v_add_co_u32 v52, vcc_lo, 0x2eb0, v46
	v_add_co_ci_u32_e32 v53, vcc_lo, 0, v47, vcc_lo
	v_add_co_u32 v46, vcc_lo, 0x2800, v46
	v_add_co_ci_u32_e32 v47, vcc_lo, 0, v47, vcc_lo
	v_add_co_u32 v56, vcc_lo, s8, v44
	v_lshlrev_b32_e32 v76, 2, v186
	v_add_co_ci_u32_e32 v57, vcc_lo, s9, v45, vcc_lo
	v_add_co_u32 v54, vcc_lo, 0x2800, v56
	v_lshlrev_b64 v[78:79], 4, v[76:77]
	v_add_co_ci_u32_e32 v55, vcc_lo, 0, v57, vcc_lo
	v_add_co_u32 v56, vcc_lo, 0x2eb0, v56
	v_add_co_ci_u32_e32 v57, vcc_lo, 0, v57, vcc_lo
	v_add_co_u32 v98, vcc_lo, s8, v78
	v_lshlrev_b32_e32 v76, 2, v185
	v_add_co_ci_u32_e32 v99, vcc_lo, s9, v79, vcc_lo
	s_clause 0x3
	global_load_dwordx4 v[44:47], v[46:47], off offset:1712
	global_load_dwordx4 v[48:51], v[52:53], off offset:48
	;; [unrolled: 1-line block ×4, first 2 shown]
	v_add_co_u32 v78, vcc_lo, 0x2eb0, v98
	v_lshlrev_b64 v[82:83], 4, v[76:77]
	v_add_co_ci_u32_e32 v79, vcc_lo, 0, v99, vcc_lo
	v_add_co_u32 v98, vcc_lo, 0x2800, v98
	v_add_co_ci_u32_e32 v99, vcc_lo, 0, v99, vcc_lo
	v_add_co_u32 v106, vcc_lo, s8, v82
	v_add_co_ci_u32_e32 v107, vcc_lo, s9, v83, vcc_lo
	v_lshlrev_b32_e32 v76, 2, v184
	v_add_co_u32 v82, vcc_lo, 0x2800, v106
	v_add_co_ci_u32_e32 v83, vcc_lo, 0, v107, vcc_lo
	v_add_co_u32 v118, vcc_lo, 0x2eb0, v106
	s_clause 0x5
	global_load_dwordx4 v[64:67], v[54:55], off offset:1712
	global_load_dwordx4 v[60:63], v[56:57], off offset:48
	;; [unrolled: 1-line block ×6, first 2 shown]
	v_add_co_ci_u32_e32 v119, vcc_lo, 0, v107, vcc_lo
	s_clause 0x1
	global_load_dwordx4 v[106:109], v[78:79], off offset:32
	global_load_dwordx4 v[110:113], v[78:79], off offset:16
	v_lshlrev_b64 v[78:79], 4, v[76:77]
	v_lshlrev_b32_e32 v76, 2, v176
	s_clause 0x3
	global_load_dwordx4 v[114:117], v[82:83], off offset:1712
	global_load_dwordx4 v[122:125], v[118:119], off offset:48
	;; [unrolled: 1-line block ×4, first 2 shown]
	v_add_co_u32 v78, vcc_lo, s8, v78
	v_add_co_ci_u32_e32 v79, vcc_lo, s9, v79, vcc_lo
	v_lshlrev_b64 v[76:77], 4, v[76:77]
	v_add_co_u32 v82, vcc_lo, 0x2eb0, v78
	v_add_co_ci_u32_e32 v83, vcc_lo, 0, v79, vcc_lo
	v_add_co_u32 v150, vcc_lo, s8, v76
	v_add_co_ci_u32_e32 v151, vcc_lo, s9, v77, vcc_lo
	;; [unrolled: 2-line block ×4, first 2 shown]
	s_clause 0x4
	global_load_dwordx4 v[76:79], v[76:77], off offset:1712
	global_load_dwordx4 v[134:137], v[82:83], off offset:48
	;; [unrolled: 1-line block ×5, first 2 shown]
	v_add_co_u32 v82, vcc_lo, 0x2800, v150
	v_add_co_ci_u32_e32 v83, vcc_lo, 0, v151, vcc_lo
	s_clause 0x2
	global_load_dwordx4 v[150:153], v[118:119], off offset:16
	global_load_dwordx4 v[154:157], v[118:119], off offset:32
	;; [unrolled: 1-line block ×3, first 2 shown]
	ds_read_b64 v[82:83], v193 offset:29000
	ds_read2_b64 v[212:215], v202 offset0:95 offset1:220
	buffer_store_dword v167, off, s[24:27], 0 offset:12 ; 4-byte Folded Spill
	buffer_store_dword v165, off, s[24:27], 0 offset:4 ; 4-byte Folded Spill
	buffer_store_dword v250, off, s[24:27], 0 offset:20 ; 4-byte Folded Spill
	buffer_store_dword v164, off, s[24:27], 0 ; 4-byte Folded Spill
	buffer_store_dword v170, off, s[24:27], 0 offset:8 ; 4-byte Folded Spill
	ds_read2_b64 v[216:219], v201 offset0:77 offset1:202
	buffer_store_dword v171, off, s[24:27], 0 offset:16 ; 4-byte Folded Spill
	v_sub_nc_u32_e32 v167, 0, v200
	v_sub_nc_u32_e32 v170, 0, v204
	;; [unrolled: 1-line block ×3, first 2 shown]
	v_mov_b32_e32 v165, v173
	v_sub_nc_u32_e32 v173, 0, v210
	ds_read2_b64 v[199:202], v199 offset0:59 offset1:184
	ds_read2_b64 v[220:223], v207 offset0:83 offset1:208
	;; [unrolled: 1-line block ×7, first 2 shown]
	ds_read_b64 v[118:119], v193
	v_add_nc_u32_e32 v167, v187, v167
	v_add_nc_u32_e32 v171, v189, v171
	;; [unrolled: 1-line block ×3, first 2 shown]
	ds_read2_b64 v[236:239], v195 offset0:71 offset1:196
	ds_read2_b64 v[193:196], v196 offset0:53 offset1:178
	v_add_nc_u32_e32 v173, v192, v173
	v_mov_b32_e32 v164, v249
	s_waitcnt vmcnt(23) lgkmcnt(11)
	v_mul_f64 v[184:185], v[44:45], v[212:213]
	s_waitcnt vmcnt(22)
	v_mul_f64 v[162:163], v[48:49], v[82:83]
	v_mul_f64 v[82:83], v[50:51], v[82:83]
	;; [unrolled: 1-line block ×3, first 2 shown]
	s_waitcnt vmcnt(20) lgkmcnt(10)
	v_mul_f64 v[189:190], v[72:73], v[216:217]
	v_mul_f64 v[212:213], v[74:75], v[216:217]
	s_waitcnt lgkmcnt(9)
	v_mul_f64 v[186:187], v[68:69], v[199:200]
	v_mul_f64 v[199:200], v[70:71], v[199:200]
	ds_read_b64 v[191:192], v173
	ds_read_b64 v[216:217], v172
	;; [unrolled: 1-line block ×6, first 2 shown]
	v_fma_f64 v[46:47], v[0:1], v[46:47], v[184:185]
	v_fma_f64 v[50:51], v[96:97], v[50:51], v[162:163]
	v_fma_f64 v[48:49], v[96:97], v[48:49], -v[82:83]
	s_waitcnt vmcnt(16) lgkmcnt(14)
	v_mul_f64 v[82:83], v[56:57], v[222:223]
	s_waitcnt lgkmcnt(13)
	v_mul_f64 v[96:97], v[64:65], v[206:207]
	v_mul_f64 v[162:163], v[66:67], v[206:207]
	v_fma_f64 v[0:1], v[0:1], v[44:45], -v[197:198]
	s_waitcnt lgkmcnt(11)
	v_mul_f64 v[44:45], v[60:61], v[210:211]
	v_mul_f64 v[184:185], v[62:63], v[210:211]
	v_fma_f64 v[74:75], v[4:5], v[74:75], v[189:190]
	v_fma_f64 v[4:5], v[4:5], v[72:73], -v[212:213]
	v_mul_f64 v[72:73], v[52:53], v[226:227]
	v_mul_f64 v[188:189], v[58:59], v[222:223]
	v_fma_f64 v[70:71], v[8:9], v[70:71], v[186:187]
	v_fma_f64 v[8:9], v[8:9], v[68:69], -v[199:200]
	v_mul_f64 v[68:69], v[54:55], v[226:227]
	s_waitcnt vmcnt(15)
	v_mul_f64 v[186:187], v[98:99], v[204:205]
	v_mul_f64 v[197:198], v[100:101], v[204:205]
	s_waitcnt vmcnt(14)
	v_mul_f64 v[199:200], v[102:103], v[208:209]
	;; [unrolled: 3-line block ×3, first 2 shown]
	v_mul_f64 v[207:208], v[112:113], v[220:221]
	v_mul_f64 v[209:210], v[106:107], v[224:225]
	;; [unrolled: 1-line block ×3, first 2 shown]
	s_waitcnt vmcnt(8) lgkmcnt(10)
	v_mul_f64 v[220:221], v[130:131], v[230:231]
	v_fma_f64 v[58:59], v[30:31], v[58:59], v[82:83]
	v_fma_f64 v[66:67], v[38:39], v[66:67], v[96:97]
	v_fma_f64 v[38:39], v[38:39], v[64:65], -v[162:163]
	s_waitcnt lgkmcnt(9)
	v_mul_f64 v[64:65], v[114:115], v[234:235]
	s_waitcnt lgkmcnt(7)
	v_mul_f64 v[96:97], v[126:127], v[238:239]
	v_fma_f64 v[44:45], v[42:43], v[62:63], v[44:45]
	v_fma_f64 v[42:43], v[42:43], v[60:61], -v[184:185]
	s_waitcnt lgkmcnt(6)
	v_mul_f64 v[60:61], v[122:123], v[195:196]
	v_mul_f64 v[62:63], v[116:117], v[234:235]
	v_fma_f64 v[30:31], v[30:31], v[56:57], -v[188:189]
	v_mul_f64 v[56:57], v[124:125], v[195:196]
	v_mul_f64 v[82:83], v[132:133], v[230:231]
	v_fma_f64 v[54:55], v[34:35], v[54:55], v[72:73]
	v_fma_f64 v[34:35], v[34:35], v[52:53], -v[68:69]
	v_mul_f64 v[52:53], v[128:129], v[238:239]
	s_waitcnt vmcnt(7)
	v_mul_f64 v[68:69], v[76:77], v[232:233]
	v_mul_f64 v[72:73], v[78:79], v[232:233]
	s_waitcnt vmcnt(6)
	v_mul_f64 v[162:163], v[134:135], v[193:194]
	;; [unrolled: 3-line block ×3, first 2 shown]
	v_mul_f64 v[193:194], v[144:145], v[228:229]
	v_mul_f64 v[195:196], v[138:139], v[236:237]
	;; [unrolled: 1-line block ×3, first 2 shown]
	s_waitcnt vmcnt(3)
	v_mul_f64 v[224:225], v[146:147], v[201:202]
	v_mul_f64 v[201:202], v[148:149], v[201:202]
	s_waitcnt vmcnt(2)
	v_mul_f64 v[226:227], v[150:151], v[214:215]
	v_mul_f64 v[213:214], v[152:153], v[214:215]
	;; [unrolled: 3-line block ×3, first 2 shown]
	v_fma_f64 v[112:113], v[28:29], v[112:113], v[205:206]
	v_fma_f64 v[100:101], v[36:37], v[100:101], v[186:187]
	;; [unrolled: 1-line block ×4, first 2 shown]
	v_fma_f64 v[36:37], v[36:37], v[98:99], -v[197:198]
	v_fma_f64 v[28:29], v[28:29], v[110:111], -v[207:208]
	;; [unrolled: 1-line block ×3, first 2 shown]
	v_fma_f64 v[98:99], v[18:19], v[132:133], v[220:221]
	v_fma_f64 v[64:65], v[14:15], v[116:117], v[64:65]
	;; [unrolled: 1-line block ×4, first 2 shown]
	v_fma_f64 v[14:15], v[14:15], v[114:115], -v[62:63]
	v_fma_f64 v[56:57], v[26:27], v[122:123], -v[56:57]
	;; [unrolled: 1-line block ×4, first 2 shown]
	v_fma_f64 v[26:27], v[12:13], v[78:79], v[68:69]
	v_fma_f64 v[106:107], v[24:25], v[136:137], v[162:163]
	v_fma_f64 v[110:111], v[12:13], v[76:77], -v[72:73]
	v_fma_f64 v[114:115], v[24:25], v[134:135], -v[184:185]
	v_add_f64 v[24:25], v[46:47], v[50:51]
	v_add_f64 v[62:63], v[46:47], -v[74:75]
	v_add_f64 v[68:69], v[50:51], -v[70:71]
	v_add_f64 v[72:73], v[74:75], v[70:71]
	s_waitcnt lgkmcnt(5)
	v_add_f64 v[76:77], v[46:47], v[191:192]
	v_add_f64 v[82:83], v[4:5], -v[0:1]
	v_add_f64 v[124:125], v[8:9], -v[48:49]
	s_waitcnt vmcnt(0) lgkmcnt(0)
	v_mul_f64 v[230:231], v[158:159], v[246:247]
	v_mul_f64 v[232:233], v[160:161], v[246:247]
	v_fma_f64 v[40:41], v[40:41], v[102:103], -v[203:204]
	v_fma_f64 v[102:103], v[16:17], v[144:145], v[188:189]
	v_fma_f64 v[78:79], v[20:21], v[140:141], v[195:196]
	v_fma_f64 v[116:117], v[16:17], v[142:143], -v[193:194]
	v_fma_f64 v[122:123], v[20:21], v[138:139], -v[222:223]
	v_add_f64 v[20:21], v[0:1], -v[48:49]
	v_add_f64 v[126:127], v[0:1], v[48:49]
	v_add_f64 v[130:131], v[0:1], -v[4:5]
	v_add_f64 v[134:135], v[4:5], v[8:9]
	v_add_f64 v[0:1], v[92:93], v[0:1]
	v_fma_f64 v[136:137], v[2:3], v[152:153], v[226:227]
	v_fma_f64 v[140:141], v[6:7], v[156:157], v[228:229]
	;; [unrolled: 1-line block ×3, first 2 shown]
	v_fma_f64 v[144:145], v[10:11], v[146:147], -v[201:202]
	v_fma_f64 v[146:147], v[2:3], v[150:151], -v[213:214]
	;; [unrolled: 1-line block ×3, first 2 shown]
	v_add_f64 v[2:3], v[58:59], -v[66:67]
	v_add_f64 v[6:7], v[54:55], -v[44:45]
	;; [unrolled: 1-line block ×9, first 2 shown]
	v_add_f64 v[186:187], v[38:39], v[42:43]
	v_add_f64 v[193:194], v[38:39], -v[30:31]
	v_add_f64 v[195:196], v[42:43], -v[34:35]
	v_add_f64 v[197:198], v[30:31], v[34:35]
	v_add_f64 v[38:39], v[90:91], v[38:39]
	;; [unrolled: 1-line block ×3, first 2 shown]
	v_add_f64 v[209:210], v[100:101], -v[112:113]
	v_add_f64 v[211:212], v[104:105], -v[108:109]
	v_add_f64 v[213:214], v[112:113], v[108:109]
	v_add_f64 v[68:69], v[62:63], v[68:69]
	;; [unrolled: 1-line block ×3, first 2 shown]
	v_fma_f64 v[24:25], v[24:25], -0.5, v[191:192]
	v_fma_f64 v[72:73], v[72:73], -0.5, v[191:192]
	v_add_f64 v[190:191], v[18:19], -v[14:15]
	v_add_f64 v[74:75], v[74:75], v[76:77]
	v_add_f64 v[76:77], v[22:23], -v[56:57]
	v_add_f64 v[82:83], v[82:83], v[124:125]
	v_add_f64 v[124:125], v[14:15], v[56:57]
	v_add_f64 v[52:53], v[4:5], -v[8:9]
	v_fma_f64 v[138:139], v[94:95], v[160:161], v[230:231]
	v_fma_f64 v[94:95], v[94:95], v[158:159], -v[232:233]
	v_add_f64 v[150:151], v[66:67], v[44:45]
	v_add_f64 v[154:155], v[66:67], -v[58:59]
	v_add_f64 v[156:157], v[44:45], -v[54:55]
	v_add_f64 v[158:159], v[58:59], v[54:55]
	v_add_f64 v[160:161], v[66:67], v[216:217]
	v_add_f64 v[199:200], v[112:113], -v[100:101]
	v_add_f64 v[201:202], v[108:109], -v[104:105]
	v_add_f64 v[218:219], v[100:101], v[240:241]
	v_add_f64 v[220:221], v[28:29], -v[36:37]
	v_add_f64 v[222:223], v[32:33], -v[40:41]
	v_add_f64 v[224:225], v[36:37], v[40:41]
	v_add_f64 v[232:233], v[28:29], v[32:33]
	v_add_f64 v[234:235], v[98:99], -v[64:65]
	v_add_f64 v[246:247], v[64:65], v[60:61]
	v_add_f64 v[250:251], v[64:65], -v[98:99]
	v_add_f64 v[254:255], v[64:65], -v[60:61]
	v_fma_f64 v[64:65], v[126:127], -0.5, v[92:93]
	v_fma_f64 v[92:93], v[134:135], -0.5, v[92:93]
	v_add_f64 v[126:127], v[14:15], -v[18:19]
	v_add_f64 v[0:1], v[4:5], v[0:1]
	v_add_f64 v[4:5], v[56:57], -v[22:23]
	v_add_f64 v[134:135], v[2:3], v[6:7]
	v_add_f64 v[6:7], v[86:87], v[14:15]
	;; [unrolled: 1-line block ×4, first 2 shown]
	v_add_f64 v[203:204], v[36:37], -v[40:41]
	v_add_f64 v[228:229], v[36:37], -v[28:29]
	v_add_f64 v[36:37], v[88:89], v[36:37]
	v_add_f64 v[2:3], v[18:19], v[22:23]
	v_add_f64 v[46:47], v[46:47], -v[50:51]
	v_add_f64 v[152:153], v[30:31], -v[34:35]
	;; [unrolled: 1-line block ×4, first 2 shown]
	v_add_f64 v[12:13], v[12:13], v[16:17]
	v_add_f64 v[16:17], v[98:99], v[96:97]
	;; [unrolled: 1-line block ×3, first 2 shown]
	v_add_f64 v[132:133], v[98:99], -v[96:97]
	v_add_f64 v[14:15], v[102:103], -v[26:27]
	v_add_f64 v[192:193], v[193:194], v[195:196]
	v_fma_f64 v[186:187], v[186:187], -0.5, v[90:91]
	v_fma_f64 v[90:91], v[197:198], -0.5, v[90:91]
	v_add_f64 v[196:197], v[26:27], -v[102:103]
	v_add_f64 v[30:31], v[30:31], v[38:39]
	v_add_f64 v[38:39], v[106:107], -v[78:79]
	v_add_f64 v[209:210], v[209:210], v[211:212]
	v_add_f64 v[211:212], v[26:27], v[244:245]
	v_fma_f64 v[205:206], v[205:206], -0.5, v[240:241]
	v_fma_f64 v[213:214], v[213:214], -0.5, v[240:241]
	v_add_f64 v[240:241], v[26:27], -v[106:107]
	v_add_f64 v[26:27], v[116:117], v[122:123]
	v_add_f64 v[62:63], v[98:99], v[62:63]
	;; [unrolled: 1-line block ×3, first 2 shown]
	v_fma_f64 v[76:77], v[124:125], -0.5, v[86:87]
	v_add_f64 v[188:189], v[58:59], -v[54:55]
	v_add_f64 v[207:208], v[28:29], -v[32:33]
	;; [unrolled: 1-line block ×5, first 2 shown]
	v_add_f64 v[154:155], v[154:155], v[156:157]
	v_fma_f64 v[150:151], v[150:151], -0.5, v[216:217]
	v_fma_f64 v[156:157], v[158:159], -0.5, v[216:217]
	v_add_f64 v[158:159], v[78:79], -v[106:107]
	v_add_f64 v[58:59], v[58:59], v[160:161]
	v_add_f64 v[194:195], v[116:117], -v[122:123]
	v_add_f64 v[198:199], v[199:200], v[201:202]
	v_add_f64 v[200:201], v[102:103], v[78:79]
	;; [unrolled: 1-line block ×5, first 2 shown]
	v_fma_f64 v[223:224], v[224:225], -0.5, v[88:89]
	v_fma_f64 v[88:89], v[232:233], -0.5, v[88:89]
	v_add_f64 v[124:125], v[126:127], v[4:5]
	v_add_f64 v[4:5], v[18:19], v[6:7]
	v_fma_f64 v[6:7], v[184:185], -0.5, v[244:245]
	v_add_f64 v[248:249], v[18:19], -v[22:23]
	v_add_f64 v[28:29], v[28:29], v[36:37]
	v_fma_f64 v[36:37], v[246:247], -0.5, v[242:243]
	v_fma_f64 v[2:3], v[2:3], -0.5, v[86:87]
	v_add_f64 v[236:237], v[96:97], -v[60:61]
	v_add_f64 v[252:253], v[60:61], -v[96:97]
	v_add_f64 v[126:127], v[196:197], v[38:39]
	v_fma_f64 v[184:185], v[26:27], -0.5, v[84:85]
	v_fma_f64 v[26:27], v[20:21], s[10:11], v[72:73]
	v_fma_f64 v[38:39], v[20:21], s[16:17], v[72:73]
	v_add_f64 v[70:71], v[70:71], v[74:75]
	v_fma_f64 v[72:73], v[128:129], s[10:11], v[64:65]
	v_fma_f64 v[64:65], v[128:129], s[16:17], v[64:65]
	;; [unrolled: 1-line block ×5, first 2 shown]
	v_add_f64 v[62:63], v[96:97], v[62:63]
	v_fma_f64 v[96:97], v[132:133], s[10:11], v[76:77]
	v_fma_f64 v[76:77], v[132:133], s[16:17], v[76:77]
	v_add_f64 v[160:161], v[110:111], -v[114:115]
	v_add_f64 v[221:222], v[228:229], v[230:231]
	v_add_f64 v[228:229], v[84:85], v[110:111]
	;; [unrolled: 1-line block ×3, first 2 shown]
	v_fma_f64 v[14:15], v[200:201], -0.5, v[244:245]
	v_fma_f64 v[158:159], v[215:216], -0.5, v[84:85]
	v_fma_f64 v[18:19], v[52:53], s[16:17], v[24:25]
	v_fma_f64 v[24:25], v[52:53], s[10:11], v[24:25]
	v_fma_f64 v[84:85], v[46:47], s[10:11], v[92:93]
	v_add_f64 v[0:1], v[0:1], v[8:9]
	v_fma_f64 v[8:9], v[152:153], s[16:17], v[150:151]
	v_fma_f64 v[92:93], v[152:153], s[10:11], v[150:151]
	;; [unrolled: 1-line block ×4, first 2 shown]
	v_add_f64 v[54:55], v[54:55], v[58:59]
	v_fma_f64 v[58:59], v[188:189], s[10:11], v[186:187]
	v_fma_f64 v[200:201], v[207:208], s[10:11], v[205:206]
	v_add_f64 v[108:109], v[108:109], v[112:113]
	v_fma_f64 v[112:113], v[226:227], s[10:11], v[223:224]
	v_fma_f64 v[215:216], v[226:227], s[16:17], v[223:224]
	;; [unrolled: 1-line block ×4, first 2 shown]
	v_add_f64 v[4:5], v[4:5], v[22:23]
	v_fma_f64 v[22:23], v[194:195], s[16:17], v[6:7]
	v_fma_f64 v[6:7], v[194:195], s[10:11], v[6:7]
	;; [unrolled: 1-line block ×3, first 2 shown]
	v_add_f64 v[28:29], v[28:29], v[32:33]
	v_fma_f64 v[32:33], v[248:249], s[16:17], v[36:37]
	v_fma_f64 v[244:245], v[254:255], s[16:17], v[2:3]
	;; [unrolled: 1-line block ×3, first 2 shown]
	v_add_f64 v[234:235], v[234:235], v[236:237]
	v_add_f64 v[236:237], v[136:137], v[140:141]
	;; [unrolled: 1-line block ×3, first 2 shown]
	v_fma_f64 v[34:35], v[207:208], s[16:17], v[205:206]
	v_fma_f64 v[205:206], v[203:204], s[10:11], v[213:214]
	;; [unrolled: 1-line block ×6, first 2 shown]
	v_add_f64 v[2:3], v[50:51], v[70:71]
	v_fma_f64 v[52:53], v[46:47], s[6:7], v[64:65]
	v_fma_f64 v[70:71], v[128:129], s[14:15], v[74:75]
	;; [unrolled: 1-line block ×3, first 2 shown]
	v_add_f64 v[64:65], v[60:61], v[62:63]
	v_fma_f64 v[60:61], v[254:255], s[14:15], v[96:97]
	v_fma_f64 v[96:97], v[254:255], s[6:7], v[76:77]
	v_add_f64 v[230:231], v[138:139], v[142:143]
	v_add_f64 v[250:251], v[250:251], v[252:253]
	;; [unrolled: 1-line block ×3, first 2 shown]
	v_fma_f64 v[16:17], v[16:17], -0.5, v[242:243]
	v_add_f64 v[242:243], v[146:147], v[148:149]
	v_fma_f64 v[18:19], v[20:21], s[6:7], v[18:19]
	v_fma_f64 v[20:21], v[20:21], s[14:15], v[24:25]
	;; [unrolled: 1-line block ×6, first 2 shown]
	v_add_f64 v[0:1], v[0:1], v[48:49]
	v_fma_f64 v[48:49], v[10:11], s[6:7], v[8:9]
	v_fma_f64 v[74:75], v[10:11], s[14:15], v[92:93]
	;; [unrolled: 1-line block ×3, first 2 shown]
	v_add_f64 v[26:27], v[44:45], v[54:55]
	v_fma_f64 v[54:55], v[66:67], s[14:15], v[58:59]
	v_fma_f64 v[128:129], v[203:204], s[14:15], v[200:201]
	v_add_f64 v[46:47], v[104:105], v[108:109]
	v_fma_f64 v[104:105], v[100:101], s[14:15], v[112:113]
	v_fma_f64 v[100:101], v[100:101], s[6:7], v[215:216]
	;; [unrolled: 1-line block ×5, first 2 shown]
	v_add_f64 v[217:218], v[102:103], -v[78:79]
	v_fma_f64 v[58:59], v[66:67], s[6:7], v[186:187]
	v_fma_f64 v[66:67], v[188:189], s[14:15], v[196:197]
	;; [unrolled: 1-line block ×7, first 2 shown]
	v_add_f64 v[24:25], v[30:31], v[42:43]
	v_fma_f64 v[42:43], v[203:204], s[6:7], v[34:35]
	v_fma_f64 v[150:151], v[207:208], s[6:7], v[205:206]
	;; [unrolled: 1-line block ×4, first 2 shown]
	v_add_f64 v[62:63], v[4:5], v[56:57]
	v_fma_f64 v[4:5], v[130:131], s[4:5], v[70:71]
	v_fma_f64 v[36:37], v[192:193], s[4:5], v[90:91]
	;; [unrolled: 1-line block ×3, first 2 shown]
	v_add_f64 v[90:91], v[94:95], -v[144:145]
	v_fma_f64 v[96:97], v[236:237], -0.5, v[118:119]
	v_add_f64 v[232:233], v[146:147], -v[148:149]
	v_fma_f64 v[190:191], v[230:231], -0.5, v[118:119]
	v_fma_f64 v[230:231], v[238:239], s[10:11], v[16:17]
	v_fma_f64 v[16:17], v[238:239], s[16:17], v[16:17]
	v_add_f64 v[44:45], v[28:29], v[40:41]
	v_fma_f64 v[10:11], v[12:13], s[4:5], v[18:19]
	v_fma_f64 v[14:15], v[12:13], s[4:5], v[20:21]
	;; [unrolled: 1-line block ×13, first 2 shown]
	v_add_f64 v[86:87], v[102:103], v[211:212]
	v_add_f64 v[100:101], v[138:139], v[118:119]
	v_fma_f64 v[104:105], v[252:253], -0.5, v[80:81]
	v_fma_f64 v[128:129], v[242:243], -0.5, v[80:81]
	v_add_f64 v[80:81], v[80:81], v[94:95]
	v_fma_f64 v[6:7], v[68:69], s[4:5], v[172:173]
	v_fma_f64 v[8:9], v[82:83], s[4:5], v[50:51]
	;; [unrolled: 1-line block ×9, first 2 shown]
	v_add_f64 v[98:99], v[116:117], -v[110:111]
	v_add_f64 v[102:103], v[122:123], -v[114:115]
	v_fma_f64 v[108:109], v[217:218], s[10:11], v[158:159]
	v_fma_f64 v[112:113], v[217:218], s[16:17], v[158:159]
	v_add_f64 v[124:125], v[138:139], -v[142:143]
	v_add_f64 v[110:111], v[110:111], -v[116:117]
	v_add_f64 v[116:117], v[116:117], v[228:229]
	v_fma_f64 v[166:167], v[194:195], s[6:7], v[166:167]
	v_fma_f64 v[32:33], v[162:163], s[4:5], v[58:59]
	;; [unrolled: 1-line block ×6, first 2 shown]
	v_add_f64 v[150:151], v[136:137], -v[138:139]
	v_add_f64 v[152:153], v[140:141], -v[142:143]
	v_fma_f64 v[160:161], v[90:91], s[10:11], v[96:97]
	v_fma_f64 v[96:97], v[90:91], s[16:17], v[96:97]
	;; [unrolled: 1-line block ×6, first 2 shown]
	v_add_f64 v[118:119], v[136:137], -v[140:141]
	v_add_f64 v[130:131], v[114:115], -v[122:123]
	v_fma_f64 v[132:133], v[240:241], s[16:17], v[184:185]
	v_fma_f64 v[134:135], v[240:241], s[10:11], v[184:185]
	;; [unrolled: 1-line block ×4, first 2 shown]
	v_add_f64 v[100:101], v[136:137], v[100:101]
	v_add_f64 v[78:79], v[78:79], v[86:87]
	;; [unrolled: 1-line block ×3, first 2 shown]
	v_fma_f64 v[184:185], v[124:125], s[16:17], v[128:129]
	v_add_f64 v[98:99], v[98:99], v[102:103]
	v_fma_f64 v[102:103], v[240:241], s[14:15], v[108:109]
	v_fma_f64 v[108:109], v[240:241], s[6:7], v[112:113]
	v_add_f64 v[116:117], v[116:117], v[122:123]
	v_fma_f64 v[128:129], v[124:125], s[10:11], v[128:129]
	v_add_f64 v[122:123], v[150:151], v[152:153]
	v_fma_f64 v[80:81], v[126:127], s[4:5], v[166:167]
	v_fma_f64 v[150:151], v[232:233], s[14:15], v[96:97]
	;; [unrolled: 1-line block ×3, first 2 shown]
	v_mad_u64_u32 v[126:127], null, s2, v176, 0
	v_add_f64 v[138:139], v[138:139], -v[136:137]
	v_add_f64 v[158:159], v[142:143], -v[140:141]
	;; [unrolled: 1-line block ×3, first 2 shown]
	v_fma_f64 v[170:171], v[118:119], s[10:11], v[104:105]
	v_fma_f64 v[104:105], v[118:119], s[16:17], v[104:105]
	v_add_f64 v[172:173], v[144:145], -v[148:149]
	v_add_f64 v[110:111], v[110:111], v[130:131]
	v_fma_f64 v[112:113], v[217:218], s[14:15], v[132:133]
	v_fma_f64 v[130:131], v[217:218], s[6:7], v[134:135]
	;; [unrolled: 1-line block ×4, first 2 shown]
	v_add_f64 v[140:141], v[140:141], v[100:101]
	v_add_f64 v[148:149], v[86:87], v[148:149]
	v_add_f64 v[136:137], v[146:147], -v[94:95]
	v_add_f64 v[94:95], v[94:95], -v[146:147]
	v_mov_b32_e32 v60, v127
	v_fma_f64 v[86:87], v[98:99], s[4:5], v[102:103]
	v_fma_f64 v[90:91], v[98:99], s[4:5], v[108:109]
	v_add_f64 v[98:99], v[116:117], v[114:115]
	v_fma_f64 v[114:115], v[118:119], s[6:7], v[128:129]
	v_mad_u64_u32 v[60:61], null, s3, v176, v[60:61]
	v_mad_u64_u32 v[128:129], null, s2, v164, 0
	v_add_f64 v[138:139], v[138:139], v[158:159]
	v_fma_f64 v[152:153], v[124:125], s[14:15], v[170:171]
	v_fma_f64 v[154:155], v[124:125], s[6:7], v[104:105]
	;; [unrolled: 1-line block ×3, first 2 shown]
	v_mov_b32_e32 v127, v60
	v_mad_u64_u32 v[118:119], null, s2, v182, 0
	v_fma_f64 v[104:105], v[122:123], s[4:5], v[132:133]
	v_fma_f64 v[108:109], v[122:123], s[4:5], v[134:135]
	v_add_f64 v[124:125], v[142:143], v[140:141]
	v_add_f64 v[122:123], v[148:149], v[144:145]
	v_add_co_u32 v60, vcc_lo, s12, v120
	v_add_f64 v[156:157], v[94:95], v[172:173]
	v_add_co_ci_u32_e32 v61, vcc_lo, s13, v121, vcc_lo
	v_lshlrev_b64 v[120:121], 4, v[126:127]
	v_add_f64 v[136:137], v[136:137], v[162:163]
	v_mov_b32_e32 v126, v129
	v_add_nc_u32_e32 v132, 0x8ca, v176
	v_fma_f64 v[94:95], v[110:111], s[4:5], v[130:131]
	v_add_f64 v[100:101], v[106:107], v[78:79]
	v_mad_u64_u32 v[129:130], null, s3, v182, v[119:120]
	v_mad_u64_u32 v[126:127], null, s3, v164, v[126:127]
	;; [unrolled: 1-line block ×3, first 2 shown]
	v_add_co_u32 v120, vcc_lo, v60, v120
	v_add_co_ci_u32_e32 v121, vcc_lo, v61, v121, vcc_lo
	v_mov_b32_e32 v119, v129
	v_mov_b32_e32 v129, v126
	;; [unrolled: 1-line block ×3, first 2 shown]
	global_store_dwordx4 v[120:121], v[122:125], off
	v_fma_f64 v[116:117], v[138:139], s[4:5], v[150:151]
	v_fma_f64 v[114:115], v[156:157], s[4:5], v[114:115]
	v_lshlrev_b64 v[118:119], 4, v[118:119]
	v_mad_u64_u32 v[122:123], null, s3, v132, v[126:127]
	v_mad_u64_u32 v[123:124], null, s2, v183, 0
	;; [unrolled: 1-line block ×3, first 2 shown]
	v_fma_f64 v[106:107], v[136:137], s[4:5], v[154:155]
	v_fma_f64 v[102:103], v[136:137], s[4:5], v[152:153]
	v_mov_b32_e32 v131, v122
	v_fma_f64 v[146:147], v[232:233], s[6:7], v[160:161]
	v_mov_b32_e32 v122, v124
	v_lshlrev_b64 v[120:121], 4, v[128:129]
	v_mov_b32_e32 v124, v126
	v_add_co_u32 v118, vcc_lo, v60, v118
	v_mad_u64_u32 v[128:129], null, s3, v183, v[122:123]
	v_lshlrev_b64 v[126:127], 4, v[130:131]
	v_mad_u64_u32 v[129:130], null, s3, v180, v[124:125]
	v_mad_u64_u32 v[130:131], null, s2, v181, 0
	v_add_co_ci_u32_e32 v119, vcc_lo, v61, v119, vcc_lo
	v_add_co_u32 v120, vcc_lo, v60, v120
	v_add_co_ci_u32_e32 v121, vcc_lo, v61, v121, vcc_lo
	v_add_co_u32 v126, vcc_lo, v60, v126
	v_add_co_ci_u32_e32 v127, vcc_lo, v61, v127, vcc_lo
	global_store_dwordx4 v[118:119], v[114:117], off
	global_store_dwordx4 v[120:121], v[106:109], off
	v_mov_b32_e32 v106, v131
	v_mov_b32_e32 v124, v128
	global_store_dwordx4 v[126:127], v[102:105], off
	v_add_nc_u32_e32 v109, 0x947, v176
	v_fma_f64 v[78:79], v[110:111], s[4:5], v[112:113]
	v_mad_u64_u32 v[104:105], null, s3, v181, v[106:107]
	v_mad_u64_u32 v[105:106], null, s2, v179, 0
	v_fma_f64 v[112:113], v[138:139], s[4:5], v[146:147]
	v_fma_f64 v[110:111], v[156:157], s[4:5], v[158:159]
	v_mov_b32_e32 v126, v129
	v_lshlrev_b64 v[102:103], 4, v[123:124]
	v_mov_b32_e32 v131, v104
	v_mad_u64_u32 v[114:115], null, s2, v109, 0
	v_mov_b32_e32 v104, v106
	v_lshlrev_b64 v[107:108], 4, v[125:126]
	v_add_co_u32 v102, vcc_lo, v60, v102
	v_mad_u64_u32 v[116:117], null, s2, v178, 0
	v_mad_u64_u32 v[120:121], null, s3, v179, v[104:105]
	v_add_co_ci_u32_e32 v103, vcc_lo, v61, v103, vcc_lo
	v_add_co_u32 v107, vcc_lo, v60, v107
	v_mov_b32_e32 v106, v115
	v_lshlrev_b64 v[118:119], 4, v[130:131]
	v_mov_b32_e32 v104, v117
	v_add_co_ci_u32_e32 v108, vcc_lo, v61, v108, vcc_lo
	v_mad_u64_u32 v[121:122], null, s3, v109, v[106:107]
	v_mov_b32_e32 v106, v120
	v_add_co_u32 v117, vcc_lo, v60, v118
	v_mad_u64_u32 v[122:123], null, s2, v174, 0
	v_add_co_ci_u32_e32 v118, vcc_lo, v61, v119, vcc_lo
	v_mad_u64_u32 v[119:120], null, s3, v178, v[104:105]
	global_store_dwordx4 v[102:103], v[110:113], off
	global_store_dwordx4 v[107:108], v[98:101], off
	v_lshlrev_b64 v[98:99], 4, v[105:106]
	v_mov_b32_e32 v115, v121
	global_store_dwordx4 v[117:118], v[94:97], off
	v_mov_b32_e32 v96, v123
	v_mad_u64_u32 v[104:105], null, s2, v175, 0
	v_add_co_u32 v97, vcc_lo, v60, v98
	v_mov_b32_e32 v117, v119
	v_lshlrev_b64 v[94:95], 4, v[114:115]
	v_add_co_ci_u32_e32 v98, vcc_lo, v61, v99, vcc_lo
	v_mad_u64_u32 v[101:102], null, s3, v174, v[96:97]
	v_mad_u64_u32 v[102:103], null, s2, v177, 0
	v_lshlrev_b64 v[99:100], 4, v[116:117]
	v_add_co_u32 v94, vcc_lo, v60, v94
	v_add_co_ci_u32_e32 v95, vcc_lo, v61, v95, vcc_lo
	global_store_dwordx4 v[97:98], v[90:93], off
	v_add_co_u32 v99, vcc_lo, v60, v99
	v_mov_b32_e32 v90, v103
	v_add_co_ci_u32_e32 v100, vcc_lo, v61, v100, vcc_lo
	v_mov_b32_e32 v123, v101
	v_fma_f64 v[186:187], v[248:249], s[6:7], v[230:231]
	global_store_dwordx4 v[94:95], v[86:89], off
	global_store_dwordx4 v[99:100], v[78:81], off
	v_mad_u64_u32 v[80:81], null, s3, v177, v[90:91]
	v_lshlrev_b64 v[78:79], 4, v[122:123]
	v_mad_u64_u32 v[86:87], null, s2, v168, 0
	v_mov_b32_e32 v81, v105
	v_mad_u64_u32 v[88:89], null, s2, v165, 0
	v_add_co_u32 v78, vcc_lo, v60, v78
	v_mov_b32_e32 v103, v80
	v_mad_u64_u32 v[80:81], null, s3, v175, v[81:82]
	v_add_co_ci_u32_e32 v79, vcc_lo, v61, v79, vcc_lo
	v_mov_b32_e32 v81, v87
	v_fma_f64 v[84:85], v[250:251], s[4:5], v[188:189]
	s_clause 0x1
	buffer_load_dword v92, off, s[24:27], 0 offset:20
	buffer_load_dword v94, off, s[24:27], 0 offset:16
	global_store_dwordx4 v[78:79], v[62:65], off
	v_mad_u64_u32 v[78:79], null, s3, v168, v[81:82]
	v_lshlrev_b64 v[63:64], 4, v[102:103]
	v_mov_b32_e32 v62, v89
	v_mov_b32_e32 v105, v80
	v_fma_f64 v[76:77], v[250:251], s[4:5], v[186:187]
	v_mad_u64_u32 v[89:90], null, s3, v165, v[62:63]
	v_add_co_u32 v62, vcc_lo, v60, v63
	v_mov_b32_e32 v87, v78
	v_add_co_ci_u32_e32 v63, vcc_lo, v61, v64, vcc_lo
	v_lshlrev_b64 v[64:65], 4, v[104:105]
	v_mad_u64_u32 v[78:79], null, s2, v169, 0
	v_lshlrev_b64 v[80:81], 4, v[86:87]
	v_lshlrev_b64 v[86:87], 4, v[88:89]
	v_add_co_u32 v64, vcc_lo, v60, v64
	v_add_co_ci_u32_e32 v65, vcc_lo, v61, v65, vcc_lo
	v_add_co_u32 v80, vcc_lo, v60, v80
	v_add_co_ci_u32_e32 v81, vcc_lo, v61, v81, vcc_lo
	;; [unrolled: 2-line block ×3, first 2 shown]
	global_store_dwordx4 v[62:63], v[82:85], off
	global_store_dwordx4 v[64:65], v[70:73], off
	;; [unrolled: 1-line block ×4, first 2 shown]
	s_clause 0x2
	buffer_load_dword v72, off, s[24:27], 0 offset:12
	buffer_load_dword v76, off, s[24:27], 0 offset:8
	;; [unrolled: 1-line block ×3, first 2 shown]
	v_mad_u64_u32 v[90:91], null, s3, v169, v[79:80]
	s_waitcnt vmcnt(4)
	v_mad_u64_u32 v[88:89], null, s2, v92, 0
	v_mov_b32_e32 v79, v89
	v_mad_u64_u32 v[91:92], null, s3, v92, v[79:80]
	s_waitcnt vmcnt(3)
	v_mad_u64_u32 v[92:93], null, s2, v94, 0
	v_mov_b32_e32 v79, v90
	v_mov_b32_e32 v89, v91
	v_lshlrev_b64 v[62:63], 4, v[78:79]
	v_mov_b32_e32 v64, v93
	v_lshlrev_b64 v[67:68], 4, v[88:89]
	v_add_co_u32 v62, vcc_lo, v60, v62
	v_add_co_ci_u32_e32 v63, vcc_lo, v61, v63, vcc_lo
	s_waitcnt vmcnt(2)
	v_mad_u64_u32 v[65:66], null, s2, v72, 0
	s_waitcnt vmcnt(0)
	v_mul_hi_u32 v74, 0x57619f1, v75
	v_mad_u64_u32 v[69:70], null, s3, v94, v[64:65]
	v_mad_u64_u32 v[70:71], null, s2, v76, 0
	v_mov_b32_e32 v64, v66
	v_add_co_u32 v66, vcc_lo, v60, v67
	v_add_co_ci_u32_e32 v67, vcc_lo, v61, v68, vcc_lo
	v_mov_b32_e32 v93, v69
	v_mad_u64_u32 v[72:73], null, s3, v72, v[64:65]
	global_store_dwordx4 v[62:63], v[44:47], off
	global_store_dwordx4 v[66:67], v[56:59], off
	v_lshrrev_b32_e32 v64, 4, v74
	v_lshlrev_b64 v[45:46], 4, v[92:93]
	v_mov_b32_e32 v44, v71
	v_mad_u32_u24 v67, 0xbb8, v64, v75
	v_mov_b32_e32 v66, v72
	v_mad_u64_u32 v[56:57], null, s3, v76, v[44:45]
	v_add_co_u32 v44, vcc_lo, v60, v45
	v_mad_u64_u32 v[57:58], null, s2, v67, 0
	v_add_nc_u32_e32 v68, 0x2ee, v67
	v_add_co_ci_u32_e32 v45, vcc_lo, v61, v46, vcc_lo
	v_lshlrev_b64 v[46:47], 4, v[65:66]
	v_mov_b32_e32 v71, v56
	v_mad_u64_u32 v[62:63], null, s2, v68, 0
	v_mov_b32_e32 v56, v58
	v_add_co_u32 v46, vcc_lo, v60, v46
	v_lshlrev_b64 v[58:59], 4, v[70:71]
	v_add_co_ci_u32_e32 v47, vcc_lo, v61, v47, vcc_lo
	global_store_dwordx4 v[44:45], v[52:55], off
	global_store_dwordx4 v[46:47], v[48:51], off
	v_mov_b32_e32 v44, v63
	v_add_co_u32 v45, vcc_lo, v60, v58
	v_add_co_ci_u32_e32 v46, vcc_lo, v61, v59, vcc_lo
	v_add_nc_u32_e32 v50, 0x8ca, v67
	v_mad_u64_u32 v[47:48], null, s3, v68, v[44:45]
	v_add_nc_u32_e32 v48, 0x5dc, v67
	global_store_dwordx4 v[45:46], v[40:43], off
	v_mad_u64_u32 v[44:45], null, s2, v50, 0
	v_mad_u64_u32 v[64:65], null, s3, v67, v[56:57]
	v_mov_b32_e32 v63, v47
	v_mad_u64_u32 v[42:43], null, s2, v48, 0
	v_add_nc_u32_e32 v52, 0xbb8, v67
	v_lshlrev_b64 v[46:47], 4, v[62:63]
	v_mov_b32_e32 v58, v64
	v_mad_u64_u32 v[48:49], null, s3, v48, v[43:44]
	v_mad_u64_u32 v[49:50], null, s3, v50, v[45:46]
	v_lshlrev_b64 v[40:41], 4, v[57:58]
	v_mad_u64_u32 v[50:51], null, s2, v52, 0
	v_mov_b32_e32 v43, v48
	v_mov_b32_e32 v45, v49
	buffer_load_dword v49, off, s[24:27], 0 ; 4-byte Folded Reload
	v_add_co_u32 v40, vcc_lo, v60, v40
	v_add_co_ci_u32_e32 v41, vcc_lo, v61, v41, vcc_lo
	v_add_co_u32 v46, vcc_lo, v60, v46
	v_add_co_ci_u32_e32 v47, vcc_lo, v61, v47, vcc_lo
	global_store_dwordx4 v[40:41], v[24:27], off
	v_lshlrev_b64 v[25:26], 4, v[42:43]
	v_mov_b32_e32 v24, v51
	global_store_dwordx4 v[46:47], v[36:39], off
	v_lshlrev_b64 v[36:37], 4, v[44:45]
	v_mad_u64_u32 v[38:39], null, s3, v52, v[24:25]
	v_add_co_u32 v24, vcc_lo, v60, v25
	v_add_co_ci_u32_e32 v25, vcc_lo, v61, v26, vcc_lo
	v_add_co_u32 v26, vcc_lo, v60, v36
	v_mov_b32_e32 v51, v38
	global_store_dwordx4 v[24:25], v[32:35], off
	v_lshlrev_b64 v[24:25], 4, v[50:51]
	s_waitcnt vmcnt(0)
	v_mul_hi_u32 v48, 0x57619f1, v49
	v_lshrrev_b32_e32 v27, 4, v48
	v_mad_u32_u24 v39, 0xbb8, v27, v49
	v_add_co_ci_u32_e32 v27, vcc_lo, v61, v37, vcc_lo
	v_add_co_u32 v24, vcc_lo, v60, v24
	v_mad_u64_u32 v[36:37], null, s2, v39, 0
	v_add_nc_u32_e32 v34, 0x5dc, v39
	global_store_dwordx4 v[26:27], v[28:31], off
	v_add_nc_u32_e32 v33, 0x2ee, v39
	v_add_nc_u32_e32 v40, 0x8ca, v39
	;; [unrolled: 1-line block ×3, first 2 shown]
	v_mad_u64_u32 v[29:30], null, s2, v34, 0
	v_mov_b32_e32 v28, v37
	v_mad_u64_u32 v[26:27], null, s2, v33, 0
	v_add_co_ci_u32_e32 v25, vcc_lo, v61, v25, vcc_lo
	v_mad_u64_u32 v[31:32], null, s3, v39, v[28:29]
	v_mad_u64_u32 v[38:39], null, s2, v41, 0
	v_mad_u64_u32 v[27:28], null, s3, v33, v[27:28]
	v_mad_u64_u32 v[32:33], null, s2, v40, 0
	v_mov_b32_e32 v37, v31
	v_mov_b32_e32 v28, v30
	global_store_dwordx4 v[24:25], v[20:23], off
	v_lshlrev_b64 v[21:22], 4, v[36:37]
	v_mov_b32_e32 v20, v33
	v_mad_u64_u32 v[34:35], null, s3, v34, v[28:29]
	v_mad_u64_u32 v[23:24], null, s3, v40, v[20:21]
	v_mov_b32_e32 v20, v39
	v_add_co_u32 v21, vcc_lo, v60, v21
	v_mov_b32_e32 v30, v34
	v_lshlrev_b64 v[24:25], 4, v[26:27]
	v_add_co_ci_u32_e32 v22, vcc_lo, v61, v22, vcc_lo
	v_mad_u64_u32 v[26:27], null, s3, v41, v[20:21]
	v_lshlrev_b64 v[27:28], 4, v[29:30]
	v_mov_b32_e32 v33, v23
	v_add_co_u32 v23, vcc_lo, v60, v24
	v_add_co_ci_u32_e32 v24, vcc_lo, v61, v25, vcc_lo
	v_mov_b32_e32 v39, v26
	v_lshlrev_b64 v[29:30], 4, v[32:33]
	v_add_co_u32 v25, vcc_lo, v60, v27
	v_add_co_ci_u32_e32 v26, vcc_lo, v61, v28, vcc_lo
	v_lshlrev_b64 v[27:28], 4, v[38:39]
	v_add_co_u32 v29, vcc_lo, v60, v29
	v_add_co_ci_u32_e32 v30, vcc_lo, v61, v30, vcc_lo
	v_add_co_u32 v27, vcc_lo, v60, v27
	v_add_co_ci_u32_e32 v28, vcc_lo, v61, v28, vcc_lo
	global_store_dwordx4 v[21:22], v[0:3], off
	global_store_dwordx4 v[23:24], v[16:19], off
	;; [unrolled: 1-line block ×5, first 2 shown]
.LBB0_15:
	s_endpgm
	.section	.rodata,"a",@progbits
	.p2align	6, 0x0
	.amdhsa_kernel fft_rtc_fwd_len3750_factors_3_5_5_10_5_wgs_125_tpt_125_halfLds_dp_ip_CI_sbrr_dirReg
		.amdhsa_group_segment_fixed_size 0
		.amdhsa_private_segment_fixed_size 28
		.amdhsa_kernarg_size 88
		.amdhsa_user_sgpr_count 6
		.amdhsa_user_sgpr_private_segment_buffer 1
		.amdhsa_user_sgpr_dispatch_ptr 0
		.amdhsa_user_sgpr_queue_ptr 0
		.amdhsa_user_sgpr_kernarg_segment_ptr 1
		.amdhsa_user_sgpr_dispatch_id 0
		.amdhsa_user_sgpr_flat_scratch_init 0
		.amdhsa_user_sgpr_private_segment_size 0
		.amdhsa_wavefront_size32 1
		.amdhsa_uses_dynamic_stack 0
		.amdhsa_system_sgpr_private_segment_wavefront_offset 1
		.amdhsa_system_sgpr_workgroup_id_x 1
		.amdhsa_system_sgpr_workgroup_id_y 0
		.amdhsa_system_sgpr_workgroup_id_z 0
		.amdhsa_system_sgpr_workgroup_info 0
		.amdhsa_system_vgpr_workitem_id 0
		.amdhsa_next_free_vgpr 256
		.amdhsa_next_free_sgpr 28
		.amdhsa_reserve_vcc 1
		.amdhsa_reserve_flat_scratch 0
		.amdhsa_float_round_mode_32 0
		.amdhsa_float_round_mode_16_64 0
		.amdhsa_float_denorm_mode_32 3
		.amdhsa_float_denorm_mode_16_64 3
		.amdhsa_dx10_clamp 1
		.amdhsa_ieee_mode 1
		.amdhsa_fp16_overflow 0
		.amdhsa_workgroup_processor_mode 1
		.amdhsa_memory_ordered 1
		.amdhsa_forward_progress 0
		.amdhsa_shared_vgpr_count 0
		.amdhsa_exception_fp_ieee_invalid_op 0
		.amdhsa_exception_fp_denorm_src 0
		.amdhsa_exception_fp_ieee_div_zero 0
		.amdhsa_exception_fp_ieee_overflow 0
		.amdhsa_exception_fp_ieee_underflow 0
		.amdhsa_exception_fp_ieee_inexact 0
		.amdhsa_exception_int_div_zero 0
	.end_amdhsa_kernel
	.text
.Lfunc_end0:
	.size	fft_rtc_fwd_len3750_factors_3_5_5_10_5_wgs_125_tpt_125_halfLds_dp_ip_CI_sbrr_dirReg, .Lfunc_end0-fft_rtc_fwd_len3750_factors_3_5_5_10_5_wgs_125_tpt_125_halfLds_dp_ip_CI_sbrr_dirReg
                                        ; -- End function
	.section	.AMDGPU.csdata,"",@progbits
; Kernel info:
; codeLenInByte = 26796
; NumSgprs: 30
; NumVgprs: 256
; ScratchSize: 28
; MemoryBound: 1
; FloatMode: 240
; IeeeMode: 1
; LDSByteSize: 0 bytes/workgroup (compile time only)
; SGPRBlocks: 3
; VGPRBlocks: 31
; NumSGPRsForWavesPerEU: 30
; NumVGPRsForWavesPerEU: 256
; Occupancy: 4
; WaveLimiterHint : 1
; COMPUTE_PGM_RSRC2:SCRATCH_EN: 1
; COMPUTE_PGM_RSRC2:USER_SGPR: 6
; COMPUTE_PGM_RSRC2:TRAP_HANDLER: 0
; COMPUTE_PGM_RSRC2:TGID_X_EN: 1
; COMPUTE_PGM_RSRC2:TGID_Y_EN: 0
; COMPUTE_PGM_RSRC2:TGID_Z_EN: 0
; COMPUTE_PGM_RSRC2:TIDIG_COMP_CNT: 0
	.text
	.p2alignl 6, 3214868480
	.fill 48, 4, 3214868480
	.type	__hip_cuid_f0d79d71d7040e39,@object ; @__hip_cuid_f0d79d71d7040e39
	.section	.bss,"aw",@nobits
	.globl	__hip_cuid_f0d79d71d7040e39
__hip_cuid_f0d79d71d7040e39:
	.byte	0                               ; 0x0
	.size	__hip_cuid_f0d79d71d7040e39, 1

	.ident	"AMD clang version 19.0.0git (https://github.com/RadeonOpenCompute/llvm-project roc-6.4.0 25133 c7fe45cf4b819c5991fe208aaa96edf142730f1d)"
	.section	".note.GNU-stack","",@progbits
	.addrsig
	.addrsig_sym __hip_cuid_f0d79d71d7040e39
	.amdgpu_metadata
---
amdhsa.kernels:
  - .args:
      - .actual_access:  read_only
        .address_space:  global
        .offset:         0
        .size:           8
        .value_kind:     global_buffer
      - .offset:         8
        .size:           8
        .value_kind:     by_value
      - .actual_access:  read_only
        .address_space:  global
        .offset:         16
        .size:           8
        .value_kind:     global_buffer
      - .actual_access:  read_only
        .address_space:  global
        .offset:         24
        .size:           8
        .value_kind:     global_buffer
      - .offset:         32
        .size:           8
        .value_kind:     by_value
      - .actual_access:  read_only
        .address_space:  global
        .offset:         40
        .size:           8
        .value_kind:     global_buffer
      - .actual_access:  read_only
        .address_space:  global
        .offset:         48
        .size:           8
        .value_kind:     global_buffer
      - .offset:         56
        .size:           4
        .value_kind:     by_value
      - .actual_access:  read_only
        .address_space:  global
        .offset:         64
        .size:           8
        .value_kind:     global_buffer
      - .actual_access:  read_only
        .address_space:  global
        .offset:         72
        .size:           8
        .value_kind:     global_buffer
      - .address_space:  global
        .offset:         80
        .size:           8
        .value_kind:     global_buffer
    .group_segment_fixed_size: 0
    .kernarg_segment_align: 8
    .kernarg_segment_size: 88
    .language:       OpenCL C
    .language_version:
      - 2
      - 0
    .max_flat_workgroup_size: 125
    .name:           fft_rtc_fwd_len3750_factors_3_5_5_10_5_wgs_125_tpt_125_halfLds_dp_ip_CI_sbrr_dirReg
    .private_segment_fixed_size: 28
    .sgpr_count:     30
    .sgpr_spill_count: 0
    .symbol:         fft_rtc_fwd_len3750_factors_3_5_5_10_5_wgs_125_tpt_125_halfLds_dp_ip_CI_sbrr_dirReg.kd
    .uniform_work_group_size: 1
    .uses_dynamic_stack: false
    .vgpr_count:     256
    .vgpr_spill_count: 6
    .wavefront_size: 32
    .workgroup_processor_mode: 1
amdhsa.target:   amdgcn-amd-amdhsa--gfx1030
amdhsa.version:
  - 1
  - 2
...

	.end_amdgpu_metadata
